;; amdgpu-corpus repo=ROCm/rocFFT kind=compiled arch=gfx950 opt=O3
	.text
	.amdgcn_target "amdgcn-amd-amdhsa--gfx950"
	.amdhsa_code_object_version 6
	.protected	fft_rtc_back_len612_factors_17_3_6_2_wgs_51_tpt_51_halfLds_dp_ip_CI_unitstride_sbrr_R2C_dirReg ; -- Begin function fft_rtc_back_len612_factors_17_3_6_2_wgs_51_tpt_51_halfLds_dp_ip_CI_unitstride_sbrr_R2C_dirReg
	.globl	fft_rtc_back_len612_factors_17_3_6_2_wgs_51_tpt_51_halfLds_dp_ip_CI_unitstride_sbrr_R2C_dirReg
	.p2align	8
	.type	fft_rtc_back_len612_factors_17_3_6_2_wgs_51_tpt_51_halfLds_dp_ip_CI_unitstride_sbrr_R2C_dirReg,@function
fft_rtc_back_len612_factors_17_3_6_2_wgs_51_tpt_51_halfLds_dp_ip_CI_unitstride_sbrr_R2C_dirReg: ; @fft_rtc_back_len612_factors_17_3_6_2_wgs_51_tpt_51_halfLds_dp_ip_CI_unitstride_sbrr_R2C_dirReg
; %bb.0:
	s_load_dwordx2 s[8:9], s[0:1], 0x50
	s_load_dwordx4 s[4:7], s[0:1], 0x0
	s_load_dwordx2 s[10:11], s[0:1], 0x18
	v_mul_u32_u24_e32 v1, 0x506, v0
	v_add_u32_sdwa v6, s2, v1 dst_sel:DWORD dst_unused:UNUSED_PAD src0_sel:DWORD src1_sel:WORD_1
	v_mov_b32_e32 v4, 0
	s_waitcnt lgkmcnt(0)
	v_cmp_lt_u64_e64 s[2:3], s[6:7], 2
	v_mov_b32_e32 v7, v4
	s_and_b64 vcc, exec, s[2:3]
	v_mov_b64_e32 v[2:3], 0
	s_cbranch_vccnz .LBB0_8
; %bb.1:
	s_load_dwordx2 s[2:3], s[0:1], 0x10
	s_add_u32 s12, s10, 8
	s_addc_u32 s13, s11, 0
	s_mov_b64 s[14:15], 1
	v_mov_b64_e32 v[2:3], 0
	s_waitcnt lgkmcnt(0)
	s_add_u32 s16, s2, 8
	s_addc_u32 s17, s3, 0
.LBB0_2:                                ; =>This Inner Loop Header: Depth=1
	s_load_dwordx2 s[18:19], s[16:17], 0x0
                                        ; implicit-def: $vgpr8_vgpr9
	s_waitcnt lgkmcnt(0)
	v_or_b32_e32 v5, s19, v7
	v_cmp_ne_u64_e32 vcc, 0, v[4:5]
	s_and_saveexec_b64 s[2:3], vcc
	s_xor_b64 s[20:21], exec, s[2:3]
	s_cbranch_execz .LBB0_4
; %bb.3:                                ;   in Loop: Header=BB0_2 Depth=1
	v_cvt_f32_u32_e32 v1, s18
	v_cvt_f32_u32_e32 v5, s19
	s_sub_u32 s2, 0, s18
	s_subb_u32 s3, 0, s19
	v_fmac_f32_e32 v1, 0x4f800000, v5
	v_rcp_f32_e32 v1, v1
	s_nop 0
	v_mul_f32_e32 v1, 0x5f7ffffc, v1
	v_mul_f32_e32 v5, 0x2f800000, v1
	v_trunc_f32_e32 v5, v5
	v_fmac_f32_e32 v1, 0xcf800000, v5
	v_cvt_u32_f32_e32 v5, v5
	v_cvt_u32_f32_e32 v1, v1
	v_mul_lo_u32 v8, s2, v5
	v_mul_hi_u32 v10, s2, v1
	v_mul_lo_u32 v9, s3, v1
	v_add_u32_e32 v10, v10, v8
	v_mul_lo_u32 v12, s2, v1
	v_add_u32_e32 v13, v10, v9
	v_mul_hi_u32 v8, v1, v12
	v_mul_hi_u32 v11, v1, v13
	v_mul_lo_u32 v10, v1, v13
	v_mov_b32_e32 v9, v4
	v_lshl_add_u64 v[8:9], v[8:9], 0, v[10:11]
	v_mul_hi_u32 v11, v5, v12
	v_mul_lo_u32 v12, v5, v12
	v_add_co_u32_e32 v8, vcc, v8, v12
	v_mul_hi_u32 v10, v5, v13
	s_nop 0
	v_addc_co_u32_e32 v8, vcc, v9, v11, vcc
	v_mov_b32_e32 v9, v4
	s_nop 0
	v_addc_co_u32_e32 v11, vcc, 0, v10, vcc
	v_mul_lo_u32 v10, v5, v13
	v_lshl_add_u64 v[8:9], v[8:9], 0, v[10:11]
	v_add_co_u32_e32 v1, vcc, v1, v8
	v_mul_lo_u32 v10, s2, v1
	s_nop 0
	v_addc_co_u32_e32 v5, vcc, v5, v9, vcc
	v_mul_lo_u32 v8, s2, v5
	v_mul_hi_u32 v9, s2, v1
	v_add_u32_e32 v8, v9, v8
	v_mul_lo_u32 v9, s3, v1
	v_add_u32_e32 v12, v8, v9
	v_mul_hi_u32 v14, v5, v10
	v_mul_lo_u32 v15, v5, v10
	v_mul_hi_u32 v9, v1, v12
	v_mul_lo_u32 v8, v1, v12
	v_mul_hi_u32 v10, v1, v10
	v_mov_b32_e32 v11, v4
	v_lshl_add_u64 v[8:9], v[10:11], 0, v[8:9]
	v_add_co_u32_e32 v8, vcc, v8, v15
	v_mul_hi_u32 v13, v5, v12
	s_nop 0
	v_addc_co_u32_e32 v8, vcc, v9, v14, vcc
	v_mul_lo_u32 v10, v5, v12
	s_nop 0
	v_addc_co_u32_e32 v11, vcc, 0, v13, vcc
	v_mov_b32_e32 v9, v4
	v_lshl_add_u64 v[8:9], v[8:9], 0, v[10:11]
	v_add_co_u32_e32 v1, vcc, v1, v8
	v_mul_hi_u32 v10, v6, v1
	s_nop 0
	v_addc_co_u32_e32 v5, vcc, v5, v9, vcc
	v_mad_u64_u32 v[8:9], s[2:3], v6, v5, 0
	v_mov_b32_e32 v11, v4
	v_lshl_add_u64 v[8:9], v[10:11], 0, v[8:9]
	v_mad_u64_u32 v[12:13], s[2:3], v7, v1, 0
	v_add_co_u32_e32 v1, vcc, v8, v12
	v_mad_u64_u32 v[10:11], s[2:3], v7, v5, 0
	s_nop 0
	v_addc_co_u32_e32 v8, vcc, v9, v13, vcc
	v_mov_b32_e32 v9, v4
	s_nop 0
	v_addc_co_u32_e32 v11, vcc, 0, v11, vcc
	v_lshl_add_u64 v[8:9], v[8:9], 0, v[10:11]
	v_mul_lo_u32 v1, s19, v8
	v_mul_lo_u32 v5, s18, v9
	v_mad_u64_u32 v[10:11], s[2:3], s18, v8, 0
	v_add3_u32 v1, v11, v5, v1
	v_sub_u32_e32 v5, v7, v1
	v_mov_b32_e32 v11, s19
	v_sub_co_u32_e32 v14, vcc, v6, v10
	v_lshl_add_u64 v[12:13], v[8:9], 0, 1
	s_nop 0
	v_subb_co_u32_e64 v5, s[2:3], v5, v11, vcc
	v_subrev_co_u32_e64 v10, s[2:3], s18, v14
	v_subb_co_u32_e32 v1, vcc, v7, v1, vcc
	s_nop 0
	v_subbrev_co_u32_e64 v5, s[2:3], 0, v5, s[2:3]
	v_cmp_le_u32_e64 s[2:3], s19, v5
	v_cmp_le_u32_e32 vcc, s19, v1
	s_nop 0
	v_cndmask_b32_e64 v11, 0, -1, s[2:3]
	v_cmp_le_u32_e64 s[2:3], s18, v10
	s_nop 1
	v_cndmask_b32_e64 v10, 0, -1, s[2:3]
	v_cmp_eq_u32_e64 s[2:3], s19, v5
	s_nop 1
	v_cndmask_b32_e64 v5, v11, v10, s[2:3]
	v_lshl_add_u64 v[10:11], v[8:9], 0, 2
	v_cmp_ne_u32_e64 s[2:3], 0, v5
	s_nop 1
	v_cndmask_b32_e64 v5, v13, v11, s[2:3]
	v_cndmask_b32_e64 v11, 0, -1, vcc
	v_cmp_le_u32_e32 vcc, s18, v14
	s_nop 1
	v_cndmask_b32_e64 v13, 0, -1, vcc
	v_cmp_eq_u32_e32 vcc, s19, v1
	s_nop 1
	v_cndmask_b32_e32 v1, v11, v13, vcc
	v_cmp_ne_u32_e32 vcc, 0, v1
	v_cndmask_b32_e64 v1, v12, v10, s[2:3]
	s_nop 0
	v_cndmask_b32_e32 v9, v9, v5, vcc
	v_cndmask_b32_e32 v8, v8, v1, vcc
.LBB0_4:                                ;   in Loop: Header=BB0_2 Depth=1
	s_andn2_saveexec_b64 s[2:3], s[20:21]
	s_cbranch_execz .LBB0_6
; %bb.5:                                ;   in Loop: Header=BB0_2 Depth=1
	v_cvt_f32_u32_e32 v1, s18
	s_sub_i32 s20, 0, s18
	v_rcp_iflag_f32_e32 v1, v1
	s_nop 0
	v_mul_f32_e32 v1, 0x4f7ffffe, v1
	v_cvt_u32_f32_e32 v1, v1
	v_mul_lo_u32 v5, s20, v1
	v_mul_hi_u32 v5, v1, v5
	v_add_u32_e32 v1, v1, v5
	v_mul_hi_u32 v1, v6, v1
	v_mul_lo_u32 v5, v1, s18
	v_sub_u32_e32 v5, v6, v5
	v_add_u32_e32 v8, 1, v1
	v_subrev_u32_e32 v9, s18, v5
	v_cmp_le_u32_e32 vcc, s18, v5
	s_nop 1
	v_cndmask_b32_e32 v5, v5, v9, vcc
	v_cndmask_b32_e32 v1, v1, v8, vcc
	v_add_u32_e32 v8, 1, v1
	v_cmp_le_u32_e32 vcc, s18, v5
	v_mov_b32_e32 v9, v4
	s_nop 0
	v_cndmask_b32_e32 v8, v1, v8, vcc
.LBB0_6:                                ;   in Loop: Header=BB0_2 Depth=1
	s_or_b64 exec, exec, s[2:3]
	v_mad_u64_u32 v[10:11], s[2:3], v8, s18, 0
	s_load_dwordx2 s[2:3], s[12:13], 0x0
	v_mul_lo_u32 v1, v9, s18
	v_mul_lo_u32 v5, v8, s19
	v_add3_u32 v1, v11, v5, v1
	v_sub_co_u32_e32 v5, vcc, v6, v10
	s_add_u32 s14, s14, 1
	s_nop 0
	v_subb_co_u32_e32 v1, vcc, v7, v1, vcc
	s_addc_u32 s15, s15, 0
	s_waitcnt lgkmcnt(0)
	v_mul_lo_u32 v1, s2, v1
	v_mul_lo_u32 v6, s3, v5
	v_mad_u64_u32 v[2:3], s[2:3], s2, v5, v[2:3]
	s_add_u32 s12, s12, 8
	v_add3_u32 v3, v6, v3, v1
	s_addc_u32 s13, s13, 0
	v_mov_b64_e32 v[6:7], s[6:7]
	s_add_u32 s16, s16, 8
	v_cmp_ge_u64_e32 vcc, s[14:15], v[6:7]
	s_addc_u32 s17, s17, 0
	s_cbranch_vccnz .LBB0_9
; %bb.7:                                ;   in Loop: Header=BB0_2 Depth=1
	v_mov_b64_e32 v[6:7], v[8:9]
	s_branch .LBB0_2
.LBB0_8:
	v_mov_b64_e32 v[8:9], v[6:7]
.LBB0_9:
	s_lshl_b64 s[2:3], s[6:7], 3
	s_add_u32 s2, s10, s2
	s_addc_u32 s3, s11, s3
	s_load_dwordx2 s[6:7], s[2:3], 0x0
	s_load_dwordx2 s[10:11], s[0:1], 0x20
	s_mov_b32 s2, 0x5050506
	s_waitcnt lgkmcnt(0)
	v_mul_lo_u32 v1, s6, v9
	v_mul_lo_u32 v4, s7, v8
	v_mad_u64_u32 v[2:3], s[0:1], s6, v8, v[2:3]
	v_add3_u32 v3, v4, v3, v1
	v_mul_hi_u32 v1, v0, s2
	v_mul_u32_u24_e32 v1, 51, v1
	v_sub_u32_e32 v70, v0, v1
	v_cmp_gt_u64_e64 s[0:1], s[10:11], v[8:9]
	v_lshl_add_u64 v[68:69], v[2:3], 4, s[8:9]
	v_lshl_add_u32 v120, v70, 4, 0
	s_and_saveexec_b64 s[2:3], s[0:1]
	s_cbranch_execz .LBB0_11
; %bb.10:
	v_mov_b32_e32 v71, 0
	v_lshl_add_u64 v[40:41], v[70:71], 4, v[68:69]
	s_movk_i32 s6, 0x1000
	v_add_co_u32_e32 v48, vcc, s6, v40
	global_load_dwordx4 v[0:3], v[40:41], off
	global_load_dwordx4 v[4:7], v[40:41], off offset:816
	global_load_dwordx4 v[8:11], v[40:41], off offset:1632
	;; [unrolled: 1-line block ×5, first 2 shown]
	v_addc_co_u32_e32 v49, vcc, 0, v41, vcc
	v_add_co_u32_e32 v50, vcc, 0x2000, v40
	global_load_dwordx4 v[24:27], v[48:49], off offset:800
	global_load_dwordx4 v[28:31], v[48:49], off offset:1616
	;; [unrolled: 1-line block ×4, first 2 shown]
	v_addc_co_u32_e32 v51, vcc, 0, v41, vcc
	global_load_dwordx4 v[40:43], v[48:49], off offset:4064
	global_load_dwordx4 v[44:47], v[50:51], off offset:784
	s_waitcnt vmcnt(11)
	ds_write_b128 v120, v[0:3]
	s_waitcnt vmcnt(10)
	ds_write_b128 v120, v[4:7] offset:816
	s_waitcnt vmcnt(9)
	ds_write_b128 v120, v[8:11] offset:1632
	;; [unrolled: 2-line block ×11, first 2 shown]
.LBB0_11:
	s_or_b64 exec, exec, s[2:3]
	s_waitcnt lgkmcnt(0)
	; wave barrier
	s_waitcnt lgkmcnt(0)
	ds_read_b128 v[0:3], v120
	ds_read_b128 v[4:7], v120 offset:576
	ds_read_b128 v[8:11], v120 offset:1152
	;; [unrolled: 1-line block ×16, first 2 shown]
	v_cmp_gt_u32_e32 vcc, 36, v70
	s_waitcnt lgkmcnt(0)
	; wave barrier
	s_waitcnt lgkmcnt(0)
	s_and_saveexec_b64 s[2:3], vcc
	s_cbranch_execz .LBB0_13
; %bb.12:
	v_add_f64 v[72:73], v[2:3], v[6:7]
	v_add_f64 v[72:73], v[72:73], v[10:11]
	;; [unrolled: 1-line block ×17, first 2 shown]
	v_add_f64 v[66:67], v[66:67], -v[62:63]
	v_add_f64 v[62:63], v[76:77], v[62:63]
	v_add_f64 v[76:77], v[78:79], v[60:61]
	v_add_f64 v[92:93], v[52:53], -v[56:57]
	v_add_f64 v[52:53], v[52:53], v[56:57]
	v_add_f64 v[56:57], v[76:77], v[56:57]
	;; [unrolled: 3-line block ×4, first 2 shown]
	v_add_f64 v[90:91], v[46:47], -v[50:51]
	v_add_f64 v[46:47], v[56:57], v[48:49]
	v_add_f64 v[100:101], v[44:45], -v[48:49]
	v_add_f64 v[54:55], v[44:45], v[48:49]
	v_add_f64 v[44:45], v[58:59], v[50:51]
	v_add_f64 v[78:79], v[34:35], v[42:43]
	v_add_f64 v[94:95], v[34:35], -v[42:43]
	v_add_f64 v[34:35], v[46:47], v[40:41]
	v_add_f64 v[104:105], v[32:33], -v[40:41]
	v_add_f64 v[56:57], v[32:33], v[40:41]
	v_add_f64 v[32:33], v[44:45], v[42:43]
	v_add_f64 v[82:83], v[26:27], v[38:39]
	;; [unrolled: 6-line block ×3, first 2 shown]
	v_add_f64 v[106:107], v[18:19], -v[30:31]
	v_add_f64 v[18:19], v[26:27], v[28:29]
	s_mov_b32 s18, 0xacd6c6b4
	v_add_f64 v[114:115], v[16:17], -v[28:29]
	v_add_f64 v[76:77], v[16:17], v[28:29]
	v_add_f64 v[16:17], v[24:25], v[30:31]
	;; [unrolled: 1-line block ×3, first 2 shown]
	v_add_f64 v[110:111], v[10:11], -v[22:23]
	v_add_f64 v[10:11], v[18:19], v[20:21]
	v_add_f64 v[118:119], v[4:5], -v[12:13]
	s_mov_b32 s30, 0x5d8e7cdc
	s_mov_b32 s19, 0xbfc7851a
	;; [unrolled: 1-line block ×3, first 2 shown]
	v_add_f64 v[116:117], v[8:9], -v[20:21]
	v_add_f64 v[80:81], v[8:9], v[20:21]
	v_add_f64 v[8:9], v[16:17], v[22:23]
	v_add_f64 v[96:97], v[6:7], v[14:15]
	v_add_f64 v[98:99], v[4:5], v[12:13]
	v_add_f64 v[4:5], v[10:11], v[12:13]
	s_mov_b32 s31, 0x3fd71e95
	s_mov_b32 s12, 0x370991
	;; [unrolled: 1-line block ×3, first 2 shown]
	v_mul_f64 v[12:13], v[118:119], s[18:19]
	s_mov_b32 s22, 0x4363dd80
	v_add_f64 v[112:113], v[6:7], -v[14:15]
	v_add_f64 v[6:7], v[8:9], v[14:15]
	s_mov_b32 s13, 0x3fedd6d0
	v_fma_f64 v[8:9], s[6:7], v[96:97], v[12:13]
	v_mul_f64 v[14:15], v[116:117], s[30:31]
	s_mov_b32 s23, 0xbfe0d888
	s_mov_b32 s10, 0x910ea3b9
	s_mov_b32 s40, 0x2a9d6da3
	v_add_f64 v[8:9], v[2:3], v[8:9]
	v_fma_f64 v[10:11], s[12:13], v[88:89], v[14:15]
	s_mov_b32 s11, 0xbfeb34fa
	v_mul_f64 v[16:17], v[114:115], s[22:23]
	s_mov_b32 s41, 0x3fe58eea
	s_mov_b32 s8, 0x75d4884
	s_mov_b32 s24, 0x6c9a05f6
	v_add_f64 v[8:9], v[10:11], v[8:9]
	v_fma_f64 v[10:11], s[10:11], v[86:87], v[16:17]
	s_mov_b32 s9, 0x3fe7a5f6
	;; [unrolled: 7-line block ×4, first 2 shown]
	v_mul_f64 v[22:23], v[100:101], s[34:35]
	s_mov_b32 s29, 0xbfeec746
	s_mov_b32 s20, 0xc61f0d01
	v_add_f64 v[8:9], v[10:11], v[8:9]
	v_fma_f64 v[10:11], s[16:17], v[62:63], v[22:23]
	s_mov_b32 s21, 0xbfd183b1
	v_mul_f64 v[24:25], v[92:93], s[28:29]
	v_add_f64 v[8:9], v[10:11], v[8:9]
	v_fma_f64 v[10:11], s[20:21], v[60:61], v[24:25]
	v_mul_f64 v[26:27], v[112:113], s[18:19]
	v_add_f64 v[8:9], v[10:11], v[8:9]
	v_fma_f64 v[10:11], v[98:99], s[6:7], -v[26:27]
	v_mul_f64 v[28:29], v[110:111], s[30:31]
	v_fma_f64 v[12:13], v[96:97], s[6:7], -v[12:13]
	v_add_f64 v[10:11], v[0:1], v[10:11]
	v_fma_f64 v[30:31], v[80:81], s[12:13], -v[28:29]
	v_fma_f64 v[14:15], v[88:89], s[12:13], -v[14:15]
	v_add_f64 v[12:13], v[2:3], v[12:13]
	v_add_f64 v[10:11], v[30:31], v[10:11]
	v_mul_f64 v[30:31], v[106:107], s[22:23]
	v_add_f64 v[12:13], v[14:15], v[12:13]
	v_fma_f64 v[14:15], v[86:87], s[10:11], -v[16:17]
	v_fma_f64 v[32:33], v[76:77], s[10:11], -v[30:31]
	v_add_f64 v[12:13], v[14:15], v[12:13]
	v_fma_f64 v[14:15], v[82:83], s[8:9], -v[18:19]
	v_add_f64 v[10:11], v[32:33], v[10:11]
	v_mul_f64 v[32:33], v[102:103], s[40:41]
	v_add_f64 v[12:13], v[14:15], v[12:13]
	v_fma_f64 v[14:15], v[78:79], s[14:15], -v[20:21]
	v_fma_f64 v[34:35], v[58:59], s[8:9], -v[32:33]
	v_add_f64 v[12:13], v[14:15], v[12:13]
	v_fma_f64 v[14:15], v[62:63], s[16:17], -v[22:23]
	v_add_f64 v[10:11], v[34:35], v[10:11]
	v_mul_f64 v[34:35], v[94:95], s[24:25]
	v_add_f64 v[12:13], v[14:15], v[12:13]
	v_fma_f64 v[14:15], v[60:61], s[20:21], -v[24:25]
	v_fmac_f64_e32 v[26:27], s[6:7], v[98:99]
	v_fma_f64 v[36:37], v[56:57], s[14:15], -v[34:35]
	v_add_f64 v[12:13], v[14:15], v[12:13]
	v_fmac_f64_e32 v[28:29], s[12:13], v[80:81]
	v_add_f64 v[14:15], v[0:1], v[26:27]
	v_add_f64 v[10:11], v[36:37], v[10:11]
	v_mul_f64 v[36:37], v[90:91], s[34:35]
	v_add_f64 v[14:15], v[28:29], v[14:15]
	v_fmac_f64_e32 v[30:31], s[10:11], v[76:77]
	v_fma_f64 v[38:39], v[54:55], s[16:17], -v[36:37]
	s_mov_b32 s52, 0xeb564b22
	v_add_f64 v[14:15], v[30:31], v[14:15]
	v_fmac_f64_e32 v[32:33], s[8:9], v[58:59]
	v_add_f64 v[10:11], v[38:39], v[10:11]
	v_mul_f64 v[38:39], v[84:85], s[28:29]
	s_mov_b32 s53, 0x3fefdd0d
	s_mov_b32 s26, 0x3259b75e
	v_add_f64 v[14:15], v[32:33], v[14:15]
	v_fmac_f64_e32 v[34:35], s[14:15], v[56:57]
	v_fma_f64 v[40:41], v[52:53], s[20:21], -v[38:39]
	s_mov_b32 s27, 0x3fb79ee6
	v_mul_f64 v[42:43], v[74:75], s[52:53]
	v_add_f64 v[14:15], v[34:35], v[14:15]
	v_fmac_f64_e32 v[36:37], s[16:17], v[54:55]
	v_add_f64 v[40:41], v[40:41], v[10:11]
	v_fma_f64 v[10:11], s[26:27], v[72:73], v[42:43]
	v_mul_f64 v[44:45], v[66:67], s[52:53]
	v_add_f64 v[14:15], v[36:37], v[14:15]
	v_fmac_f64_e32 v[38:39], s[20:21], v[52:53]
	v_add_f64 v[10:11], v[10:11], v[8:9]
	v_fma_f64 v[8:9], v[64:65], s[26:27], -v[44:45]
	v_add_f64 v[16:17], v[38:39], v[14:15]
	v_fma_f64 v[14:15], v[72:73], s[26:27], -v[42:43]
	v_fmac_f64_e32 v[44:45], s[26:27], v[64:65]
	v_mul_f64 v[20:21], v[118:119], s[22:23]
	v_add_f64 v[14:15], v[14:15], v[12:13]
	v_add_f64 v[12:13], v[44:45], v[16:17]
	v_fma_f64 v[16:17], s[10:11], v[96:97], v[20:21]
	v_mul_f64 v[22:23], v[116:117], s[34:35]
	s_mov_b32 s37, 0xbfefdd0d
	s_mov_b32 s36, s52
	v_add_f64 v[16:17], v[2:3], v[16:17]
	v_fma_f64 v[18:19], s[16:17], v[88:89], v[22:23]
	v_mul_f64 v[24:25], v[114:115], s[36:37]
	s_mov_b32 s49, 0x3fe9895b
	s_mov_b32 s48, s24
	;; [unrolled: 5-line block ×3, first 2 shown]
	v_add_f64 v[16:17], v[18:19], v[16:17]
	v_fma_f64 v[18:19], s[14:15], v[82:83], v[26:27]
	v_mul_f64 v[28:29], v[104:105], s[38:39]
	v_add_f64 v[16:17], v[18:19], v[16:17]
	v_fma_f64 v[18:19], s[12:13], v[78:79], v[28:29]
	v_mul_f64 v[30:31], v[100:101], s[18:19]
	;; [unrolled: 3-line block ×4, first 2 shown]
	v_add_f64 v[16:17], v[18:19], v[16:17]
	v_fma_f64 v[18:19], v[98:99], s[10:11], -v[34:35]
	v_mul_f64 v[36:37], v[110:111], s[34:35]
	v_fma_f64 v[20:21], v[96:97], s[10:11], -v[20:21]
	v_add_f64 v[18:19], v[0:1], v[18:19]
	v_fma_f64 v[38:39], v[80:81], s[16:17], -v[36:37]
	v_fma_f64 v[22:23], v[88:89], s[16:17], -v[22:23]
	v_add_f64 v[20:21], v[2:3], v[20:21]
	v_add_f64 v[18:19], v[38:39], v[18:19]
	v_mul_f64 v[38:39], v[106:107], s[36:37]
	v_add_f64 v[20:21], v[22:23], v[20:21]
	v_fma_f64 v[22:23], v[86:87], s[26:27], -v[24:25]
	v_add_f64 v[8:9], v[8:9], v[40:41]
	v_fma_f64 v[40:41], v[76:77], s[26:27], -v[38:39]
	;; [unrolled: 2-line block ×3, first 2 shown]
	v_add_f64 v[18:19], v[40:41], v[18:19]
	v_mul_f64 v[40:41], v[102:103], s[48:49]
	v_add_f64 v[20:21], v[22:23], v[20:21]
	v_fma_f64 v[22:23], v[78:79], s[12:13], -v[28:29]
	v_fma_f64 v[42:43], v[58:59], s[14:15], -v[40:41]
	v_add_f64 v[20:21], v[22:23], v[20:21]
	v_fma_f64 v[22:23], v[62:63], s[6:7], -v[30:31]
	v_add_f64 v[18:19], v[42:43], v[18:19]
	v_mul_f64 v[42:43], v[94:95], s[38:39]
	v_add_f64 v[20:21], v[22:23], v[20:21]
	v_fma_f64 v[22:23], v[60:61], s[8:9], -v[32:33]
	v_fmac_f64_e32 v[34:35], s[10:11], v[98:99]
	v_fma_f64 v[44:45], v[56:57], s[12:13], -v[42:43]
	v_add_f64 v[20:21], v[22:23], v[20:21]
	v_fmac_f64_e32 v[36:37], s[16:17], v[80:81]
	v_add_f64 v[22:23], v[0:1], v[34:35]
	v_add_f64 v[18:19], v[44:45], v[18:19]
	v_mul_f64 v[44:45], v[90:91], s[18:19]
	v_add_f64 v[22:23], v[36:37], v[22:23]
	v_fmac_f64_e32 v[38:39], s[26:27], v[76:77]
	v_fma_f64 v[46:47], v[54:55], s[6:7], -v[44:45]
	v_add_f64 v[22:23], v[38:39], v[22:23]
	v_fmac_f64_e32 v[40:41], s[14:15], v[58:59]
	v_add_f64 v[18:19], v[46:47], v[18:19]
	v_mul_f64 v[46:47], v[84:85], s[40:41]
	v_add_f64 v[22:23], v[40:41], v[22:23]
	v_fmac_f64_e32 v[42:43], s[12:13], v[56:57]
	v_fma_f64 v[48:49], v[52:53], s[8:9], -v[46:47]
	v_mul_f64 v[50:51], v[74:75], s[28:29]
	v_add_f64 v[22:23], v[42:43], v[22:23]
	v_fmac_f64_e32 v[44:45], s[6:7], v[54:55]
	v_add_f64 v[48:49], v[48:49], v[18:19]
	v_fma_f64 v[18:19], s[20:21], v[72:73], v[50:51]
	v_mul_f64 v[122:123], v[66:67], s[28:29]
	v_add_f64 v[22:23], v[44:45], v[22:23]
	v_fmac_f64_e32 v[46:47], s[8:9], v[52:53]
	v_add_f64 v[18:19], v[18:19], v[16:17]
	v_fma_f64 v[16:17], v[64:65], s[20:21], -v[122:123]
	v_add_f64 v[24:25], v[46:47], v[22:23]
	v_fma_f64 v[22:23], v[72:73], s[20:21], -v[50:51]
	v_fmac_f64_e32 v[122:123], s[20:21], v[64:65]
	s_mov_b32 s45, 0x3feec746
	s_mov_b32 s44, s28
	v_mul_f64 v[28:29], v[118:119], s[24:25]
	v_add_f64 v[22:23], v[22:23], v[20:21]
	v_add_f64 v[20:21], v[122:123], v[24:25]
	v_fma_f64 v[24:25], s[14:15], v[96:97], v[28:29]
	v_mul_f64 v[30:31], v[116:117], s[44:45]
	v_add_f64 v[24:25], v[2:3], v[24:25]
	v_fma_f64 v[26:27], s[20:21], v[88:89], v[30:31]
	v_mul_f64 v[32:33], v[114:115], s[38:39]
	v_add_f64 v[24:25], v[26:27], v[24:25]
	v_fma_f64 v[26:27], s[12:13], v[86:87], v[32:33]
	v_mul_f64 v[34:35], v[108:109], s[22:23]
	v_add_f64 v[24:25], v[26:27], v[24:25]
	v_fma_f64 v[26:27], s[10:11], v[82:83], v[34:35]
	v_mul_f64 v[36:37], v[104:105], s[52:53]
	s_mov_b32 s43, 0xbfe58eea
	s_mov_b32 s42, s40
	v_add_f64 v[24:25], v[26:27], v[24:25]
	v_fma_f64 v[26:27], s[26:27], v[78:79], v[36:37]
	v_mul_f64 v[38:39], v[100:101], s[42:43]
	v_add_f64 v[24:25], v[26:27], v[24:25]
	v_fma_f64 v[26:27], s[8:9], v[62:63], v[38:39]
	v_mul_f64 v[40:41], v[92:93], s[18:19]
	;; [unrolled: 3-line block ×3, first 2 shown]
	v_add_f64 v[24:25], v[26:27], v[24:25]
	v_fma_f64 v[26:27], v[98:99], s[14:15], -v[42:43]
	v_mul_f64 v[44:45], v[110:111], s[44:45]
	v_fma_f64 v[28:29], v[96:97], s[14:15], -v[28:29]
	v_add_f64 v[26:27], v[0:1], v[26:27]
	v_fma_f64 v[46:47], v[80:81], s[20:21], -v[44:45]
	v_fma_f64 v[30:31], v[88:89], s[20:21], -v[30:31]
	v_add_f64 v[28:29], v[2:3], v[28:29]
	v_add_f64 v[26:27], v[46:47], v[26:27]
	v_mul_f64 v[46:47], v[106:107], s[38:39]
	v_add_f64 v[28:29], v[30:31], v[28:29]
	v_fma_f64 v[30:31], v[86:87], s[12:13], -v[32:33]
	v_add_f64 v[16:17], v[16:17], v[48:49]
	v_fma_f64 v[48:49], v[76:77], s[12:13], -v[46:47]
	;; [unrolled: 2-line block ×3, first 2 shown]
	v_add_f64 v[26:27], v[48:49], v[26:27]
	v_mul_f64 v[48:49], v[102:103], s[22:23]
	v_add_f64 v[28:29], v[30:31], v[28:29]
	v_fma_f64 v[30:31], v[78:79], s[26:27], -v[36:37]
	v_fma_f64 v[50:51], v[58:59], s[10:11], -v[48:49]
	v_add_f64 v[28:29], v[30:31], v[28:29]
	v_fma_f64 v[30:31], v[62:63], s[8:9], -v[38:39]
	v_add_f64 v[26:27], v[50:51], v[26:27]
	v_mul_f64 v[50:51], v[94:95], s[52:53]
	v_add_f64 v[28:29], v[30:31], v[28:29]
	v_fma_f64 v[30:31], v[60:61], s[6:7], -v[40:41]
	v_fmac_f64_e32 v[42:43], s[14:15], v[98:99]
	v_fma_f64 v[122:123], v[56:57], s[26:27], -v[50:51]
	v_add_f64 v[28:29], v[30:31], v[28:29]
	v_fmac_f64_e32 v[44:45], s[20:21], v[80:81]
	v_add_f64 v[30:31], v[0:1], v[42:43]
	v_add_f64 v[26:27], v[122:123], v[26:27]
	v_mul_f64 v[122:123], v[90:91], s[42:43]
	v_add_f64 v[30:31], v[44:45], v[30:31]
	v_fmac_f64_e32 v[46:47], s[12:13], v[76:77]
	v_fma_f64 v[124:125], v[54:55], s[8:9], -v[122:123]
	v_add_f64 v[30:31], v[46:47], v[30:31]
	v_fmac_f64_e32 v[48:49], s[10:11], v[58:59]
	v_add_f64 v[26:27], v[124:125], v[26:27]
	v_mul_f64 v[124:125], v[84:85], s[18:19]
	v_add_f64 v[30:31], v[48:49], v[30:31]
	v_fmac_f64_e32 v[50:51], s[26:27], v[56:57]
	v_fma_f64 v[126:127], v[52:53], s[6:7], -v[124:125]
	v_mul_f64 v[128:129], v[74:75], s[34:35]
	v_add_f64 v[30:31], v[50:51], v[30:31]
	v_fmac_f64_e32 v[122:123], s[8:9], v[54:55]
	v_add_f64 v[126:127], v[126:127], v[26:27]
	v_fma_f64 v[26:27], s[16:17], v[72:73], v[128:129]
	v_mul_f64 v[130:131], v[66:67], s[34:35]
	v_add_f64 v[30:31], v[122:123], v[30:31]
	v_fmac_f64_e32 v[124:125], s[6:7], v[52:53]
	v_add_f64 v[26:27], v[26:27], v[24:25]
	v_fma_f64 v[24:25], v[64:65], s[16:17], -v[130:131]
	v_add_f64 v[32:33], v[124:125], v[30:31]
	v_fma_f64 v[30:31], v[72:73], s[16:17], -v[128:129]
	v_fmac_f64_e32 v[130:131], s[16:17], v[64:65]
	s_mov_b32 s51, 0x3fe0d888
	s_mov_b32 s50, s22
	v_mul_f64 v[36:37], v[118:119], s[28:29]
	v_add_f64 v[30:31], v[30:31], v[28:29]
	v_add_f64 v[28:29], v[130:131], v[32:33]
	v_fma_f64 v[32:33], s[20:21], v[96:97], v[36:37]
	v_mul_f64 v[38:39], v[116:117], s[50:51]
	v_add_f64 v[32:33], v[2:3], v[32:33]
	v_fma_f64 v[34:35], s[10:11], v[88:89], v[38:39]
	v_mul_f64 v[40:41], v[114:115], s[40:41]
	s_mov_b32 s47, 0xbfeca52d
	s_mov_b32 s46, s34
	v_add_f64 v[32:33], v[34:35], v[32:33]
	v_fma_f64 v[34:35], s[8:9], v[86:87], v[40:41]
	v_mul_f64 v[42:43], v[108:109], s[46:47]
	v_add_f64 v[32:33], v[34:35], v[32:33]
	v_fma_f64 v[34:35], s[16:17], v[82:83], v[42:43]
	v_mul_f64 v[44:45], v[104:105], s[18:19]
	;; [unrolled: 3-line block ×5, first 2 shown]
	v_add_f64 v[32:33], v[34:35], v[32:33]
	v_fma_f64 v[34:35], v[98:99], s[20:21], -v[50:51]
	v_mul_f64 v[122:123], v[110:111], s[50:51]
	v_fma_f64 v[36:37], v[96:97], s[20:21], -v[36:37]
	v_add_f64 v[34:35], v[0:1], v[34:35]
	v_fma_f64 v[124:125], v[80:81], s[10:11], -v[122:123]
	v_fma_f64 v[38:39], v[88:89], s[10:11], -v[38:39]
	v_add_f64 v[36:37], v[2:3], v[36:37]
	v_add_f64 v[34:35], v[124:125], v[34:35]
	v_mul_f64 v[124:125], v[106:107], s[40:41]
	v_add_f64 v[36:37], v[38:39], v[36:37]
	v_fma_f64 v[38:39], v[86:87], s[8:9], -v[40:41]
	v_add_f64 v[24:25], v[24:25], v[126:127]
	v_fma_f64 v[126:127], v[76:77], s[8:9], -v[124:125]
	;; [unrolled: 2-line block ×3, first 2 shown]
	v_add_f64 v[34:35], v[126:127], v[34:35]
	v_mul_f64 v[126:127], v[102:103], s[46:47]
	v_add_f64 v[36:37], v[38:39], v[36:37]
	v_fma_f64 v[38:39], v[78:79], s[6:7], -v[44:45]
	v_fma_f64 v[128:129], v[58:59], s[16:17], -v[126:127]
	v_add_f64 v[36:37], v[38:39], v[36:37]
	v_fma_f64 v[38:39], v[62:63], s[26:27], -v[46:47]
	v_add_f64 v[34:35], v[128:129], v[34:35]
	v_mul_f64 v[128:129], v[94:95], s[18:19]
	v_add_f64 v[36:37], v[38:39], v[36:37]
	v_fma_f64 v[38:39], v[60:61], s[12:13], -v[48:49]
	v_fmac_f64_e32 v[50:51], s[20:21], v[98:99]
	v_fma_f64 v[130:131], v[56:57], s[6:7], -v[128:129]
	v_add_f64 v[36:37], v[38:39], v[36:37]
	v_fmac_f64_e32 v[122:123], s[10:11], v[80:81]
	v_add_f64 v[38:39], v[0:1], v[50:51]
	v_add_f64 v[34:35], v[130:131], v[34:35]
	v_mul_f64 v[130:131], v[90:91], s[52:53]
	v_add_f64 v[38:39], v[122:123], v[38:39]
	v_fmac_f64_e32 v[124:125], s[8:9], v[76:77]
	v_fma_f64 v[132:133], v[54:55], s[26:27], -v[130:131]
	v_add_f64 v[38:39], v[124:125], v[38:39]
	v_fmac_f64_e32 v[126:127], s[16:17], v[58:59]
	v_add_f64 v[34:35], v[132:133], v[34:35]
	v_mul_f64 v[132:133], v[84:85], s[38:39]
	v_add_f64 v[38:39], v[126:127], v[38:39]
	v_fmac_f64_e32 v[128:129], s[6:7], v[56:57]
	v_fma_f64 v[134:135], v[52:53], s[12:13], -v[132:133]
	v_mul_f64 v[136:137], v[74:75], s[24:25]
	v_add_f64 v[38:39], v[128:129], v[38:39]
	v_fmac_f64_e32 v[130:131], s[26:27], v[54:55]
	v_add_f64 v[134:135], v[134:135], v[34:35]
	v_fma_f64 v[34:35], s[14:15], v[72:73], v[136:137]
	v_mul_f64 v[138:139], v[66:67], s[24:25]
	v_add_f64 v[38:39], v[130:131], v[38:39]
	v_fmac_f64_e32 v[132:133], s[12:13], v[52:53]
	v_add_f64 v[34:35], v[34:35], v[32:33]
	v_fma_f64 v[32:33], v[64:65], s[14:15], -v[138:139]
	v_add_f64 v[40:41], v[132:133], v[38:39]
	v_fma_f64 v[38:39], v[72:73], s[14:15], -v[136:137]
	v_fmac_f64_e32 v[138:139], s[14:15], v[64:65]
	v_mul_f64 v[44:45], v[118:119], s[36:37]
	v_add_f64 v[38:39], v[38:39], v[36:37]
	v_add_f64 v[36:37], v[138:139], v[40:41]
	v_fma_f64 v[40:41], s[26:27], v[96:97], v[44:45]
	v_mul_f64 v[46:47], v[116:117], s[18:19]
	v_add_f64 v[40:41], v[2:3], v[40:41]
	v_fma_f64 v[42:43], s[6:7], v[88:89], v[46:47]
	v_mul_f64 v[48:49], v[114:115], s[44:45]
	v_add_f64 v[40:41], v[42:43], v[40:41]
	v_fma_f64 v[42:43], s[20:21], v[86:87], v[48:49]
	v_mul_f64 v[50:51], v[108:109], s[30:31]
	v_add_f64 v[40:41], v[42:43], v[40:41]
	v_fma_f64 v[42:43], s[12:13], v[82:83], v[50:51]
	v_mul_f64 v[122:123], v[104:105], s[46:47]
	v_add_f64 v[40:41], v[42:43], v[40:41]
	v_fma_f64 v[42:43], s[16:17], v[78:79], v[122:123]
	v_mul_f64 v[124:125], v[100:101], s[22:23]
	v_add_f64 v[40:41], v[42:43], v[40:41]
	v_fma_f64 v[42:43], s[10:11], v[62:63], v[124:125]
	v_mul_f64 v[126:127], v[92:93], s[48:49]
	v_add_f64 v[40:41], v[42:43], v[40:41]
	v_fma_f64 v[42:43], s[14:15], v[60:61], v[126:127]
	v_mul_f64 v[128:129], v[112:113], s[36:37]
	v_add_f64 v[40:41], v[42:43], v[40:41]
	v_fma_f64 v[42:43], v[98:99], s[26:27], -v[128:129]
	v_mul_f64 v[130:131], v[110:111], s[18:19]
	v_fma_f64 v[44:45], v[96:97], s[26:27], -v[44:45]
	v_add_f64 v[42:43], v[0:1], v[42:43]
	v_fma_f64 v[132:133], v[80:81], s[6:7], -v[130:131]
	v_fma_f64 v[46:47], v[88:89], s[6:7], -v[46:47]
	v_add_f64 v[44:45], v[2:3], v[44:45]
	v_add_f64 v[42:43], v[132:133], v[42:43]
	v_mul_f64 v[132:133], v[106:107], s[44:45]
	v_add_f64 v[44:45], v[46:47], v[44:45]
	v_fma_f64 v[46:47], v[86:87], s[20:21], -v[48:49]
	v_add_f64 v[32:33], v[32:33], v[134:135]
	v_fma_f64 v[134:135], v[76:77], s[20:21], -v[132:133]
	;; [unrolled: 2-line block ×3, first 2 shown]
	v_add_f64 v[42:43], v[134:135], v[42:43]
	v_mul_f64 v[134:135], v[102:103], s[30:31]
	v_add_f64 v[44:45], v[46:47], v[44:45]
	v_fma_f64 v[46:47], v[78:79], s[16:17], -v[122:123]
	v_fma_f64 v[136:137], v[58:59], s[12:13], -v[134:135]
	v_add_f64 v[44:45], v[46:47], v[44:45]
	v_fma_f64 v[46:47], v[62:63], s[10:11], -v[124:125]
	v_add_f64 v[42:43], v[136:137], v[42:43]
	v_mul_f64 v[136:137], v[94:95], s[46:47]
	v_add_f64 v[44:45], v[46:47], v[44:45]
	v_fma_f64 v[46:47], v[60:61], s[14:15], -v[126:127]
	v_fmac_f64_e32 v[128:129], s[26:27], v[98:99]
	v_fma_f64 v[138:139], v[56:57], s[16:17], -v[136:137]
	v_add_f64 v[44:45], v[46:47], v[44:45]
	v_fmac_f64_e32 v[130:131], s[6:7], v[80:81]
	v_add_f64 v[46:47], v[0:1], v[128:129]
	v_add_f64 v[42:43], v[138:139], v[42:43]
	v_mul_f64 v[138:139], v[90:91], s[22:23]
	v_add_f64 v[46:47], v[130:131], v[46:47]
	v_fmac_f64_e32 v[132:133], s[20:21], v[76:77]
	v_fma_f64 v[140:141], v[54:55], s[10:11], -v[138:139]
	v_add_f64 v[46:47], v[132:133], v[46:47]
	v_fmac_f64_e32 v[134:135], s[12:13], v[58:59]
	v_add_f64 v[42:43], v[140:141], v[42:43]
	v_mul_f64 v[140:141], v[84:85], s[48:49]
	v_add_f64 v[46:47], v[134:135], v[46:47]
	v_fmac_f64_e32 v[136:137], s[16:17], v[56:57]
	v_fma_f64 v[142:143], v[52:53], s[14:15], -v[140:141]
	v_mul_f64 v[144:145], v[74:75], s[40:41]
	v_add_f64 v[46:47], v[136:137], v[46:47]
	v_fmac_f64_e32 v[138:139], s[10:11], v[54:55]
	v_add_f64 v[142:143], v[142:143], v[42:43]
	v_fma_f64 v[42:43], s[8:9], v[72:73], v[144:145]
	v_mul_f64 v[146:147], v[66:67], s[40:41]
	v_add_f64 v[46:47], v[138:139], v[46:47]
	v_fmac_f64_e32 v[140:141], s[14:15], v[52:53]
	v_fma_f64 v[48:49], v[72:73], s[8:9], -v[144:145]
	v_mul_f64 v[122:123], v[118:119], s[46:47]
	v_add_f64 v[42:43], v[42:43], v[40:41]
	v_fma_f64 v[40:41], v[64:65], s[8:9], -v[146:147]
	v_add_f64 v[46:47], v[140:141], v[46:47]
	v_add_f64 v[50:51], v[48:49], v[44:45]
	v_fmac_f64_e32 v[146:147], s[8:9], v[64:65]
	v_fma_f64 v[44:45], s[16:17], v[96:97], v[122:123]
	v_mul_f64 v[124:125], v[116:117], s[24:25]
	s_mov_b32 s49, 0x3fc7851a
	s_mov_b32 s48, s18
	v_add_f64 v[48:49], v[146:147], v[46:47]
	v_add_f64 v[44:45], v[2:3], v[44:45]
	v_fma_f64 v[46:47], s[14:15], v[88:89], v[124:125]
	v_mul_f64 v[126:127], v[114:115], s[48:49]
	v_add_f64 v[44:45], v[46:47], v[44:45]
	v_fma_f64 v[46:47], s[6:7], v[86:87], v[126:127]
	v_mul_f64 v[128:129], v[108:109], s[44:45]
	;; [unrolled: 3-line block ×6, first 2 shown]
	v_add_f64 v[44:45], v[46:47], v[44:45]
	v_fma_f64 v[46:47], v[98:99], s[16:17], -v[136:137]
	v_mul_f64 v[138:139], v[110:111], s[24:25]
	v_fma_f64 v[122:123], v[96:97], s[16:17], -v[122:123]
	v_add_f64 v[46:47], v[0:1], v[46:47]
	v_fma_f64 v[140:141], v[80:81], s[14:15], -v[138:139]
	v_fma_f64 v[124:125], v[88:89], s[14:15], -v[124:125]
	v_add_f64 v[122:123], v[2:3], v[122:123]
	v_add_f64 v[46:47], v[140:141], v[46:47]
	v_mul_f64 v[140:141], v[106:107], s[48:49]
	v_add_f64 v[122:123], v[124:125], v[122:123]
	v_fma_f64 v[124:125], v[86:87], s[6:7], -v[126:127]
	v_add_f64 v[40:41], v[40:41], v[142:143]
	v_fma_f64 v[142:143], v[76:77], s[6:7], -v[140:141]
	;; [unrolled: 2-line block ×3, first 2 shown]
	v_add_f64 v[46:47], v[142:143], v[46:47]
	v_mul_f64 v[142:143], v[102:103], s[44:45]
	v_add_f64 v[122:123], v[124:125], v[122:123]
	v_fma_f64 v[124:125], v[78:79], s[8:9], -v[130:131]
	v_fma_f64 v[144:145], v[58:59], s[20:21], -v[142:143]
	v_add_f64 v[122:123], v[124:125], v[122:123]
	v_fma_f64 v[124:125], v[62:63], s[12:13], -v[132:133]
	v_add_f64 v[46:47], v[144:145], v[46:47]
	v_mul_f64 v[144:145], v[94:95], s[40:41]
	v_add_f64 v[122:123], v[124:125], v[122:123]
	v_fma_f64 v[124:125], v[60:61], s[26:27], -v[134:135]
	v_fmac_f64_e32 v[136:137], s[16:17], v[98:99]
	v_fma_f64 v[146:147], v[56:57], s[8:9], -v[144:145]
	v_add_f64 v[122:123], v[124:125], v[122:123]
	v_fmac_f64_e32 v[138:139], s[14:15], v[80:81]
	v_add_f64 v[124:125], v[0:1], v[136:137]
	v_add_f64 v[46:47], v[146:147], v[46:47]
	v_mul_f64 v[146:147], v[90:91], s[38:39]
	v_add_f64 v[124:125], v[138:139], v[124:125]
	v_fmac_f64_e32 v[140:141], s[6:7], v[76:77]
	v_fma_f64 v[148:149], v[54:55], s[12:13], -v[146:147]
	v_add_f64 v[124:125], v[140:141], v[124:125]
	v_fmac_f64_e32 v[142:143], s[20:21], v[58:59]
	v_add_f64 v[46:47], v[148:149], v[46:47]
	v_mul_f64 v[148:149], v[84:85], s[36:37]
	v_add_f64 v[124:125], v[142:143], v[124:125]
	v_fmac_f64_e32 v[144:145], s[8:9], v[56:57]
	v_fma_f64 v[150:151], v[52:53], s[26:27], -v[148:149]
	v_mul_f64 v[152:153], v[74:75], s[22:23]
	v_add_f64 v[124:125], v[144:145], v[124:125]
	v_fmac_f64_e32 v[146:147], s[12:13], v[54:55]
	v_add_f64 v[150:151], v[150:151], v[46:47]
	v_fma_f64 v[46:47], s[10:11], v[72:73], v[152:153]
	v_mul_f64 v[154:155], v[66:67], s[22:23]
	v_add_f64 v[124:125], v[146:147], v[124:125]
	v_fmac_f64_e32 v[148:149], s[26:27], v[52:53]
	v_add_f64 v[46:47], v[46:47], v[44:45]
	v_fma_f64 v[44:45], v[64:65], s[10:11], -v[154:155]
	v_add_f64 v[126:127], v[148:149], v[124:125]
	v_fma_f64 v[124:125], v[72:73], s[10:11], -v[152:153]
	v_fmac_f64_e32 v[154:155], s[10:11], v[64:65]
	v_mul_f64 v[130:131], v[118:119], s[42:43]
	v_add_f64 v[124:125], v[124:125], v[122:123]
	v_add_f64 v[122:123], v[154:155], v[126:127]
	v_fma_f64 v[126:127], s[8:9], v[96:97], v[130:131]
	v_mul_f64 v[132:133], v[116:117], s[36:37]
	v_add_f64 v[126:127], v[2:3], v[126:127]
	v_fma_f64 v[128:129], s[26:27], v[88:89], v[132:133]
	v_mul_f64 v[134:135], v[114:115], s[24:25]
	v_add_f64 v[126:127], v[128:129], v[126:127]
	v_fma_f64 v[128:129], s[14:15], v[86:87], v[134:135]
	v_mul_f64 v[136:137], v[108:109], s[18:19]
	v_add_f64 v[126:127], v[128:129], v[126:127]
	v_fma_f64 v[128:129], s[6:7], v[82:83], v[136:137]
	v_mul_f64 v[138:139], v[104:105], s[50:51]
	v_add_f64 v[126:127], v[128:129], v[126:127]
	v_fma_f64 v[128:129], s[10:11], v[78:79], v[138:139]
	v_mul_f64 v[140:141], v[100:101], s[44:45]
	v_add_f64 v[126:127], v[128:129], v[126:127]
	v_fma_f64 v[128:129], s[20:21], v[62:63], v[140:141]
	v_mul_f64 v[142:143], v[92:93], s[34:35]
	v_add_f64 v[126:127], v[128:129], v[126:127]
	v_fma_f64 v[128:129], s[16:17], v[60:61], v[142:143]
	v_mul_f64 v[144:145], v[112:113], s[42:43]
	v_add_f64 v[126:127], v[128:129], v[126:127]
	v_fma_f64 v[128:129], v[98:99], s[8:9], -v[144:145]
	v_mul_f64 v[146:147], v[110:111], s[36:37]
	v_fma_f64 v[130:131], v[96:97], s[8:9], -v[130:131]
	v_add_f64 v[128:129], v[0:1], v[128:129]
	v_fma_f64 v[148:149], v[80:81], s[26:27], -v[146:147]
	v_fma_f64 v[132:133], v[88:89], s[26:27], -v[132:133]
	v_add_f64 v[130:131], v[2:3], v[130:131]
	v_add_f64 v[128:129], v[148:149], v[128:129]
	v_mul_f64 v[148:149], v[106:107], s[24:25]
	v_add_f64 v[130:131], v[132:133], v[130:131]
	v_fma_f64 v[132:133], v[86:87], s[14:15], -v[134:135]
	v_add_f64 v[44:45], v[44:45], v[150:151]
	v_fma_f64 v[150:151], v[76:77], s[14:15], -v[148:149]
	;; [unrolled: 2-line block ×3, first 2 shown]
	v_add_f64 v[128:129], v[150:151], v[128:129]
	v_mul_f64 v[150:151], v[102:103], s[18:19]
	v_add_f64 v[130:131], v[132:133], v[130:131]
	v_fma_f64 v[132:133], v[78:79], s[10:11], -v[138:139]
	v_fma_f64 v[152:153], v[58:59], s[6:7], -v[150:151]
	v_add_f64 v[130:131], v[132:133], v[130:131]
	v_fma_f64 v[132:133], v[62:63], s[20:21], -v[140:141]
	v_add_f64 v[128:129], v[152:153], v[128:129]
	v_mul_f64 v[152:153], v[94:95], s[50:51]
	v_add_f64 v[130:131], v[132:133], v[130:131]
	v_fma_f64 v[132:133], v[60:61], s[16:17], -v[142:143]
	v_fmac_f64_e32 v[144:145], s[8:9], v[98:99]
	v_fma_f64 v[154:155], v[56:57], s[10:11], -v[152:153]
	v_add_f64 v[130:131], v[132:133], v[130:131]
	v_fmac_f64_e32 v[146:147], s[26:27], v[80:81]
	v_add_f64 v[132:133], v[0:1], v[144:145]
	v_add_f64 v[128:129], v[154:155], v[128:129]
	v_mul_f64 v[154:155], v[90:91], s[44:45]
	v_add_f64 v[132:133], v[146:147], v[132:133]
	v_fmac_f64_e32 v[148:149], s[14:15], v[76:77]
	v_fma_f64 v[156:157], v[54:55], s[20:21], -v[154:155]
	v_add_f64 v[132:133], v[148:149], v[132:133]
	v_fmac_f64_e32 v[150:151], s[6:7], v[58:59]
	v_add_f64 v[128:129], v[156:157], v[128:129]
	v_mul_f64 v[156:157], v[84:85], s[34:35]
	v_add_f64 v[132:133], v[150:151], v[132:133]
	v_fmac_f64_e32 v[152:153], s[10:11], v[56:57]
	v_fma_f64 v[158:159], v[52:53], s[16:17], -v[156:157]
	v_mul_f64 v[160:161], v[74:75], s[30:31]
	v_add_f64 v[132:133], v[152:153], v[132:133]
	v_fmac_f64_e32 v[154:155], s[20:21], v[54:55]
	v_add_f64 v[158:159], v[158:159], v[128:129]
	v_fma_f64 v[128:129], s[12:13], v[72:73], v[160:161]
	v_mul_f64 v[162:163], v[66:67], s[30:31]
	v_add_f64 v[132:133], v[154:155], v[132:133]
	v_fmac_f64_e32 v[156:157], s[16:17], v[52:53]
	v_add_f64 v[128:129], v[128:129], v[126:127]
	v_fma_f64 v[126:127], v[64:65], s[12:13], -v[162:163]
	v_add_f64 v[134:135], v[156:157], v[132:133]
	v_fma_f64 v[132:133], v[72:73], s[12:13], -v[160:161]
	v_fmac_f64_e32 v[162:163], s[12:13], v[64:65]
	v_mul_f64 v[118:119], v[118:119], s[38:39]
	v_add_f64 v[132:133], v[132:133], v[130:131]
	v_add_f64 v[130:131], v[162:163], v[134:135]
	v_mul_f64 v[116:117], v[116:117], s[42:43]
	v_fma_f64 v[134:135], s[12:13], v[96:97], v[118:119]
	v_add_f64 v[134:135], v[2:3], v[134:135]
	v_fma_f64 v[136:137], s[8:9], v[88:89], v[116:117]
	v_mul_f64 v[114:115], v[114:115], s[46:47]
	v_add_f64 v[134:135], v[136:137], v[134:135]
	v_fma_f64 v[136:137], s[16:17], v[86:87], v[114:115]
	v_mul_f64 v[108:109], v[108:109], s[36:37]
	;; [unrolled: 3-line block ×4, first 2 shown]
	v_add_f64 v[134:135], v[136:137], v[134:135]
	v_fma_f64 v[136:137], s[14:15], v[62:63], v[100:101]
	v_add_f64 v[134:135], v[136:137], v[134:135]
	v_mul_f64 v[136:137], v[92:93], s[22:23]
	v_fma_f64 v[92:93], s[10:11], v[60:61], v[136:137]
	v_mul_f64 v[112:113], v[112:113], s[38:39]
	v_add_f64 v[92:93], v[92:93], v[134:135]
	v_mul_f64 v[110:111], v[110:111], s[42:43]
	v_fma_f64 v[134:135], v[98:99], s[12:13], -v[112:113]
	v_add_f64 v[134:135], v[0:1], v[134:135]
	v_fma_f64 v[138:139], v[80:81], s[8:9], -v[110:111]
	v_mul_f64 v[106:107], v[106:107], s[46:47]
	v_add_f64 v[134:135], v[138:139], v[134:135]
	v_fma_f64 v[138:139], v[76:77], s[16:17], -v[106:107]
	v_mul_f64 v[102:103], v[102:103], s[36:37]
	;; [unrolled: 3-line block ×3, first 2 shown]
	v_add_f64 v[134:135], v[138:139], v[134:135]
	v_fma_f64 v[138:139], v[56:57], s[20:21], -v[94:95]
	v_add_f64 v[134:135], v[138:139], v[134:135]
	v_mul_f64 v[138:139], v[90:91], s[24:25]
	v_fma_f64 v[90:91], v[54:55], s[14:15], -v[138:139]
	v_mul_f64 v[84:85], v[84:85], s[22:23]
	v_add_f64 v[90:91], v[90:91], v[134:135]
	v_fma_f64 v[134:135], v[52:53], s[10:11], -v[84:85]
	v_mul_f64 v[74:75], v[74:75], s[18:19]
	v_fma_f64 v[96:97], v[96:97], s[12:13], -v[118:119]
	v_fmac_f64_e32 v[112:113], s[12:13], v[98:99]
	v_add_f64 v[90:91], v[134:135], v[90:91]
	v_fma_f64 v[134:135], s[6:7], v[72:73], v[74:75]
	v_add_f64 v[2:3], v[2:3], v[96:97]
	v_add_f64 v[0:1], v[0:1], v[112:113]
	v_fma_f64 v[72:73], v[72:73], s[6:7], -v[74:75]
	v_fma_f64 v[74:75], v[78:79], s[20:21], -v[104:105]
	;; [unrolled: 1-line block ×5, first 2 shown]
	v_fmac_f64_e32 v[110:111], s[8:9], v[80:81]
	v_add_f64 v[2:3], v[86:87], v[2:3]
	v_fmac_f64_e32 v[106:107], s[16:17], v[76:77]
	v_add_f64 v[0:1], v[110:111], v[0:1]
	v_add_f64 v[2:3], v[82:83], v[2:3]
	v_fmac_f64_e32 v[102:103], s[26:27], v[58:59]
	v_add_f64 v[0:1], v[106:107], v[0:1]
	;; [unrolled: 3-line block ×3, first 2 shown]
	v_fma_f64 v[62:63], v[62:63], s[14:15], -v[100:101]
	v_add_f64 v[2:3], v[74:75], v[2:3]
	v_fmac_f64_e32 v[138:139], s[14:15], v[54:55]
	v_add_f64 v[0:1], v[94:95], v[0:1]
	v_mul_f64 v[66:67], v[66:67], s[18:19]
	v_fma_f64 v[60:61], v[60:61], s[10:11], -v[136:137]
	v_add_f64 v[2:3], v[62:63], v[2:3]
	v_fmac_f64_e32 v[84:85], s[10:11], v[52:53]
	v_add_f64 v[0:1], v[138:139], v[0:1]
	v_add_f64 v[92:93], v[134:135], v[92:93]
	v_fma_f64 v[134:135], v[64:65], s[6:7], -v[66:67]
	v_add_f64 v[2:3], v[60:61], v[2:3]
	v_fmac_f64_e32 v[66:67], s[6:7], v[64:65]
	v_add_f64 v[0:1], v[84:85], v[0:1]
	v_lshl_add_u32 v52, v70, 8, v120
	v_add_f64 v[126:127], v[126:127], v[158:159]
	v_add_f64 v[90:91], v[134:135], v[90:91]
	;; [unrolled: 1-line block ×4, first 2 shown]
	ds_write_b128 v52, v[4:7]
	ds_write_b128 v52, v[0:3] offset:16
	ds_write_b128 v52, v[130:133] offset:32
	ds_write_b128 v52, v[122:125] offset:48
	ds_write_b128 v52, v[48:51] offset:64
	ds_write_b128 v52, v[36:39] offset:80
	ds_write_b128 v52, v[28:31] offset:96
	ds_write_b128 v52, v[20:23] offset:112
	ds_write_b128 v52, v[12:15] offset:128
	ds_write_b128 v52, v[8:11] offset:144
	ds_write_b128 v52, v[16:19] offset:160
	ds_write_b128 v52, v[24:27] offset:176
	ds_write_b128 v52, v[32:35] offset:192
	ds_write_b128 v52, v[40:43] offset:208
	ds_write_b128 v52, v[44:47] offset:224
	ds_write_b128 v52, v[126:129] offset:240
	ds_write_b128 v52, v[90:93] offset:256
.LBB0_13:
	s_or_b64 exec, exec, s[2:3]
	s_movk_i32 s2, 0xf1
	v_mul_lo_u16_sdwa v0, v70, s2 dst_sel:DWORD dst_unused:UNUSED_PAD src0_sel:BYTE_0 src1_sel:DWORD
	v_lshrrev_b16_e32 v71, 12, v0
	v_mul_lo_u16_e32 v0, 17, v71
	v_sub_u16_e32 v100, v70, v0
	v_mov_b32_e32 v0, 5
	v_lshlrev_b32_sdwa v1, v0, v100 dst_sel:DWORD dst_unused:UNUSED_PAD src0_sel:DWORD src1_sel:BYTE_0
	s_waitcnt lgkmcnt(0)
	; wave barrier
	s_waitcnt lgkmcnt(0)
	global_load_dwordx4 v[4:7], v1, s[4:5] offset:16
	global_load_dwordx4 v[8:11], v1, s[4:5]
	v_add_u16_e32 v1, 51, v70
	v_mul_lo_u16_sdwa v2, v1, s2 dst_sel:DWORD dst_unused:UNUSED_PAD src0_sel:BYTE_0 src1_sel:DWORD
	v_lshrrev_b16_e32 v101, 12, v2
	v_mul_lo_u16_e32 v2, 17, v101
	v_sub_u16_e32 v102, v1, v2
	v_lshlrev_b32_sdwa v1, v0, v102 dst_sel:DWORD dst_unused:UNUSED_PAD src0_sel:DWORD src1_sel:BYTE_0
	global_load_dwordx4 v[12:15], v1, s[4:5] offset:16
	global_load_dwordx4 v[16:19], v1, s[4:5]
	v_add_u16_e32 v1, 0x66, v70
	v_mul_lo_u16_sdwa v2, v1, s2 dst_sel:DWORD dst_unused:UNUSED_PAD src0_sel:BYTE_0 src1_sel:DWORD
	v_lshrrev_b16_e32 v103, 12, v2
	v_mul_lo_u16_e32 v2, 17, v103
	v_sub_u16_e32 v104, v1, v2
	v_lshlrev_b32_sdwa v1, v0, v104 dst_sel:DWORD dst_unused:UNUSED_PAD src0_sel:DWORD src1_sel:BYTE_0
	;; [unrolled: 8-line block ×3, first 2 shown]
	global_load_dwordx4 v[28:31], v0, s[4:5]
	global_load_dwordx4 v[32:35], v0, s[4:5] offset:16
	ds_read_b128 v[36:39], v120
	ds_read_b128 v[40:43], v120 offset:816
	ds_read_b128 v[44:47], v120 offset:3264
	;; [unrolled: 1-line block ×11, first 2 shown]
	s_mov_b32 s6, 0xe8584caa
	s_mov_b32 s7, 0xbfebb67a
	;; [unrolled: 1-line block ×4, first 2 shown]
	s_waitcnt lgkmcnt(0)
	; wave barrier
	s_waitcnt vmcnt(7) lgkmcnt(0)
	v_mul_f64 v[86:87], v[54:55], v[6:7]
	s_waitcnt vmcnt(6)
	v_mul_f64 v[84:85], v[46:47], v[10:11]
	v_mul_f64 v[10:11], v[44:45], v[10:11]
	;; [unrolled: 1-line block ×3, first 2 shown]
	v_fmac_f64_e32 v[84:85], v[44:45], v[8:9]
	v_fmac_f64_e32 v[86:87], v[52:53], v[4:5]
	v_fma_f64 v[10:11], v[46:47], v[8:9], -v[10:11]
	s_waitcnt vmcnt(5)
	v_mul_f64 v[90:91], v[58:59], v[14:15]
	s_waitcnt vmcnt(4)
	v_mul_f64 v[88:89], v[50:51], v[18:19]
	v_mul_f64 v[14:15], v[56:57], v[14:15]
	v_fma_f64 v[44:45], v[54:55], v[4:5], -v[6:7]
	v_add_f64 v[6:7], v[84:85], v[86:87]
	v_mul_f64 v[18:19], v[48:49], v[18:19]
	v_fmac_f64_e32 v[88:89], v[48:49], v[16:17]
	v_fmac_f64_e32 v[90:91], v[56:57], v[12:13]
	v_fma_f64 v[46:47], v[58:59], v[12:13], -v[14:15]
	v_add_f64 v[4:5], v[36:37], v[84:85]
	v_add_f64 v[12:13], v[10:11], -v[44:45]
	v_add_f64 v[14:15], v[38:39], v[10:11]
	v_fmac_f64_e32 v[36:37], -0.5, v[6:7]
	v_add_f64 v[10:11], v[10:11], v[44:45]
	v_fma_f64 v[18:19], v[50:51], v[16:17], -v[18:19]
	v_fma_f64 v[8:9], s[6:7], v[12:13], v[36:37]
	v_fmac_f64_e32 v[36:37], s[2:3], v[12:13]
	v_add_f64 v[6:7], v[14:15], v[44:45]
	v_fmac_f64_e32 v[38:39], -0.5, v[10:11]
	v_add_f64 v[12:13], v[84:85], -v[86:87]
	v_add_f64 v[14:15], v[88:89], v[90:91]
	s_waitcnt vmcnt(2)
	v_mul_f64 v[92:93], v[66:67], v[26:27]
	v_mul_f64 v[94:95], v[78:79], v[22:23]
	v_fma_f64 v[10:11], s[2:3], v[12:13], v[38:39]
	v_fmac_f64_e32 v[38:39], s[6:7], v[12:13]
	v_add_f64 v[12:13], v[40:41], v[88:89]
	v_fmac_f64_e32 v[40:41], -0.5, v[14:15]
	v_add_f64 v[14:15], v[18:19], -v[46:47]
	v_mul_f64 v[26:27], v[64:65], v[26:27]
	v_mul_f64 v[22:23], v[76:77], v[22:23]
	v_fmac_f64_e32 v[92:93], v[64:65], v[24:25]
	v_fmac_f64_e32 v[94:95], v[76:77], v[20:21]
	v_fma_f64 v[16:17], s[6:7], v[14:15], v[40:41]
	v_fmac_f64_e32 v[40:41], s[2:3], v[14:15]
	v_add_f64 v[14:15], v[42:43], v[18:19]
	v_add_f64 v[18:19], v[18:19], v[46:47]
	v_fma_f64 v[26:27], v[66:67], v[24:25], -v[26:27]
	v_fma_f64 v[48:49], v[78:79], v[20:21], -v[22:23]
	v_fmac_f64_e32 v[42:43], -0.5, v[18:19]
	v_add_f64 v[20:21], v[88:89], -v[90:91]
	v_add_f64 v[22:23], v[92:93], v[94:95]
	s_waitcnt vmcnt(1)
	v_mul_f64 v[96:97], v[74:75], v[30:31]
	s_waitcnt vmcnt(0)
	v_mul_f64 v[98:99], v[82:83], v[34:35]
	v_fma_f64 v[18:19], s[2:3], v[20:21], v[42:43]
	v_fmac_f64_e32 v[42:43], s[6:7], v[20:21]
	v_add_f64 v[20:21], v[60:61], v[92:93]
	v_fmac_f64_e32 v[60:61], -0.5, v[22:23]
	v_add_f64 v[22:23], v[26:27], -v[48:49]
	v_mul_f64 v[30:31], v[72:73], v[30:31]
	v_mul_f64 v[34:35], v[80:81], v[34:35]
	v_fmac_f64_e32 v[96:97], v[72:73], v[28:29]
	v_fmac_f64_e32 v[98:99], v[80:81], v[32:33]
	v_fma_f64 v[24:25], s[6:7], v[22:23], v[60:61]
	v_fmac_f64_e32 v[60:61], s[2:3], v[22:23]
	v_add_f64 v[22:23], v[62:63], v[26:27]
	v_add_f64 v[26:27], v[26:27], v[48:49]
	v_fma_f64 v[50:51], v[74:75], v[28:29], -v[30:31]
	v_fma_f64 v[34:35], v[82:83], v[32:33], -v[34:35]
	v_fmac_f64_e32 v[62:63], -0.5, v[26:27]
	v_add_f64 v[28:29], v[92:93], -v[94:95]
	v_add_f64 v[30:31], v[96:97], v[98:99]
	v_fma_f64 v[26:27], s[2:3], v[28:29], v[62:63]
	v_fmac_f64_e32 v[62:63], s[6:7], v[28:29]
	v_add_f64 v[28:29], v[0:1], v[96:97]
	v_fmac_f64_e32 v[0:1], -0.5, v[30:31]
	v_add_f64 v[30:31], v[50:51], -v[34:35]
	v_fma_f64 v[32:33], s[6:7], v[30:31], v[0:1]
	v_fmac_f64_e32 v[0:1], s[2:3], v[30:31]
	v_add_f64 v[30:31], v[2:3], v[50:51]
	v_add_f64 v[30:31], v[30:31], v[34:35]
	;; [unrolled: 1-line block ×3, first 2 shown]
	v_fmac_f64_e32 v[2:3], -0.5, v[34:35]
	v_add_f64 v[44:45], v[96:97], -v[98:99]
	v_fma_f64 v[34:35], s[2:3], v[44:45], v[2:3]
	v_fmac_f64_e32 v[2:3], s[6:7], v[44:45]
	v_mov_b32_e32 v45, 4
	v_add_f64 v[14:15], v[14:15], v[46:47]
	v_mul_u32_u24_e32 v44, 0x330, v71
	v_lshlrev_b32_sdwa v46, v45, v100 dst_sel:DWORD dst_unused:UNUSED_PAD src0_sel:DWORD src1_sel:BYTE_0
	v_add_f64 v[4:5], v[4:5], v[86:87]
	v_add3_u32 v44, 0, v44, v46
	ds_write_b128 v44, v[4:7]
	ds_write_b128 v44, v[8:11] offset:272
	ds_write_b128 v44, v[36:39] offset:544
	v_mul_u32_u24_e32 v4, 0x330, v101
	v_lshlrev_b32_sdwa v5, v45, v102 dst_sel:DWORD dst_unused:UNUSED_PAD src0_sel:DWORD src1_sel:BYTE_0
	v_add_f64 v[12:13], v[12:13], v[90:91]
	v_add3_u32 v4, 0, v4, v5
	ds_write_b128 v4, v[12:15]
	ds_write_b128 v4, v[16:19] offset:272
	ds_write_b128 v4, v[40:43] offset:544
	v_mul_u32_u24_e32 v4, 0x330, v103
	v_lshlrev_b32_sdwa v5, v45, v104 dst_sel:DWORD dst_unused:UNUSED_PAD src0_sel:DWORD src1_sel:BYTE_0
	v_add_f64 v[20:21], v[20:21], v[94:95]
	v_add_f64 v[22:23], v[22:23], v[48:49]
	v_add3_u32 v4, 0, v4, v5
	ds_write_b128 v4, v[20:23]
	ds_write_b128 v4, v[24:27] offset:272
	ds_write_b128 v4, v[60:63] offset:544
	v_mul_u32_u24_e32 v4, 0x330, v105
	v_lshlrev_b32_sdwa v5, v45, v106 dst_sel:DWORD dst_unused:UNUSED_PAD src0_sel:DWORD src1_sel:BYTE_0
	v_add_f64 v[28:29], v[28:29], v[98:99]
	v_add3_u32 v4, 0, v4, v5
	ds_write_b128 v4, v[28:31]
	ds_write_b128 v4, v[32:35] offset:272
	ds_write_b128 v4, v[0:3] offset:544
	v_mul_u32_u24_e32 v0, 5, v70
	v_lshlrev_b32_e32 v20, 4, v0
	s_waitcnt lgkmcnt(0)
	; wave barrier
	s_waitcnt lgkmcnt(0)
	global_load_dwordx4 v[0:3], v20, s[4:5] offset:544
	global_load_dwordx4 v[4:7], v20, s[4:5] offset:560
	;; [unrolled: 1-line block ×5, first 2 shown]
	ds_read_b128 v[20:23], v120
	ds_read_b128 v[24:27], v120 offset:816
	ds_read_b128 v[28:31], v120 offset:1632
	;; [unrolled: 1-line block ×11, first 2 shown]
	v_mov_b32_e32 v71, 0
	s_waitcnt lgkmcnt(0)
	; wave barrier
	s_waitcnt vmcnt(4) lgkmcnt(0)
	v_mul_f64 v[72:73], v[30:31], v[2:3]
	v_fmac_f64_e32 v[72:73], v[28:29], v[0:1]
	v_mul_f64 v[28:29], v[28:29], v[2:3]
	v_fma_f64 v[28:29], v[30:31], v[0:1], -v[28:29]
	s_waitcnt vmcnt(3)
	v_mul_f64 v[30:31], v[38:39], v[6:7]
	v_fmac_f64_e32 v[30:31], v[36:37], v[4:5]
	v_mul_f64 v[36:37], v[36:37], v[6:7]
	v_fma_f64 v[36:37], v[38:39], v[4:5], -v[36:37]
	s_waitcnt vmcnt(2)
	;; [unrolled: 5-line block ×4, first 2 shown]
	v_mul_f64 v[54:55], v[62:63], v[18:19]
	v_fmac_f64_e32 v[54:55], v[60:61], v[16:17]
	v_mul_f64 v[60:61], v[60:61], v[18:19]
	v_fma_f64 v[60:61], v[62:63], v[16:17], -v[60:61]
	v_mul_f64 v[62:63], v[34:35], v[2:3]
	v_mul_f64 v[2:3], v[32:33], v[2:3]
	v_fmac_f64_e32 v[62:63], v[32:33], v[0:1]
	v_fma_f64 v[74:75], v[34:35], v[0:1], -v[2:3]
	v_mul_f64 v[0:1], v[40:41], v[6:7]
	v_fma_f64 v[34:35], v[42:43], v[4:5], -v[0:1]
	v_mul_f64 v[0:1], v[48:49], v[10:11]
	v_mul_f64 v[32:33], v[42:43], v[6:7]
	v_fma_f64 v[42:43], v[50:51], v[8:9], -v[0:1]
	v_mul_f64 v[0:1], v[56:57], v[14:15]
	v_fmac_f64_e32 v[32:33], v[40:41], v[4:5]
	v_mul_f64 v[40:41], v[50:51], v[10:11]
	v_fma_f64 v[50:51], v[58:59], v[12:13], -v[0:1]
	v_mul_f64 v[0:1], v[64:65], v[18:19]
	v_fmac_f64_e32 v[40:41], v[48:49], v[8:9]
	v_mul_f64 v[48:49], v[58:59], v[14:15]
	v_fma_f64 v[58:59], v[66:67], v[16:17], -v[0:1]
	v_add_f64 v[0:1], v[20:21], v[30:31]
	v_fmac_f64_e32 v[48:49], v[56:57], v[12:13]
	v_add_f64 v[12:13], v[0:1], v[46:47]
	v_add_f64 v[0:1], v[30:31], v[46:47]
	v_fmac_f64_e32 v[20:21], -0.5, v[0:1]
	v_add_f64 v[0:1], v[36:37], -v[52:53]
	v_fma_f64 v[14:15], s[6:7], v[0:1], v[20:21]
	v_fmac_f64_e32 v[20:21], s[2:3], v[0:1]
	v_add_f64 v[0:1], v[22:23], v[36:37]
	v_mul_f64 v[56:57], v[66:67], v[18:19]
	v_add_f64 v[18:19], v[0:1], v[52:53]
	v_add_f64 v[0:1], v[36:37], v[52:53]
	v_fmac_f64_e32 v[22:23], -0.5, v[0:1]
	v_add_f64 v[0:1], v[30:31], -v[46:47]
	v_fma_f64 v[30:31], s[2:3], v[0:1], v[22:23]
	v_fmac_f64_e32 v[22:23], s[6:7], v[0:1]
	v_add_f64 v[0:1], v[72:73], v[38:39]
	v_fmac_f64_e32 v[56:57], v[64:65], v[16:17]
	v_add_f64 v[16:17], v[0:1], v[54:55]
	v_add_f64 v[0:1], v[38:39], v[54:55]
	v_fmac_f64_e32 v[72:73], -0.5, v[0:1]
	v_add_f64 v[0:1], v[44:45], -v[60:61]
	v_fma_f64 v[6:7], s[6:7], v[0:1], v[72:73]
	v_fmac_f64_e32 v[72:73], s[2:3], v[0:1]
	v_add_f64 v[0:1], v[28:29], v[44:45]
	v_add_f64 v[36:37], v[0:1], v[60:61]
	;; [unrolled: 1-line block ×3, first 2 shown]
	v_fmac_f64_e32 v[28:29], -0.5, v[0:1]
	v_add_f64 v[0:1], v[38:39], -v[54:55]
	v_fma_f64 v[10:11], s[2:3], v[0:1], v[28:29]
	v_fmac_f64_e32 v[28:29], s[6:7], v[0:1]
	v_mul_f64 v[44:45], v[28:29], s[6:7]
	v_mul_f64 v[28:29], v[28:29], -0.5
	v_fmac_f64_e32 v[28:29], s[2:3], v[72:73]
	v_mul_f64 v[38:39], v[10:11], s[6:7]
	v_fmac_f64_e32 v[44:45], -0.5, v[72:73]
	v_mul_f64 v[46:47], v[10:11], 0.5
	v_add_f64 v[10:11], v[22:23], v[28:29]
	v_add_f64 v[22:23], v[22:23], -v[28:29]
	v_add_f64 v[28:29], v[24:25], v[32:33]
	v_add_f64 v[8:9], v[20:21], v[44:45]
	v_add_f64 v[20:21], v[20:21], -v[44:45]
	v_add_f64 v[44:45], v[28:29], v[48:49]
	v_add_f64 v[28:29], v[32:33], v[48:49]
	v_fmac_f64_e32 v[38:39], 0.5, v[6:7]
	v_fmac_f64_e32 v[46:47], s[2:3], v[6:7]
	v_fmac_f64_e32 v[24:25], -0.5, v[28:29]
	v_add_f64 v[28:29], v[34:35], -v[50:51]
	v_add_f64 v[0:1], v[12:13], v[16:17]
	v_add_f64 v[4:5], v[14:15], v[38:39]
	;; [unrolled: 1-line block ×4, first 2 shown]
	v_add_f64 v[12:13], v[12:13], -v[16:17]
	v_add_f64 v[16:17], v[14:15], -v[38:39]
	;; [unrolled: 1-line block ×4, first 2 shown]
	v_fma_f64 v[46:47], s[6:7], v[28:29], v[24:25]
	v_fmac_f64_e32 v[24:25], s[2:3], v[28:29]
	v_add_f64 v[28:29], v[26:27], v[34:35]
	v_add_f64 v[52:53], v[28:29], v[50:51]
	v_add_f64 v[28:29], v[34:35], v[50:51]
	v_fmac_f64_e32 v[26:27], -0.5, v[28:29]
	v_add_f64 v[28:29], v[32:33], -v[48:49]
	v_fma_f64 v[48:49], s[2:3], v[28:29], v[26:27]
	v_fmac_f64_e32 v[26:27], s[6:7], v[28:29]
	v_add_f64 v[28:29], v[62:63], v[40:41]
	v_add_f64 v[50:51], v[28:29], v[56:57]
	v_add_f64 v[28:29], v[40:41], v[56:57]
	v_fmac_f64_e32 v[62:63], -0.5, v[28:29]
	v_add_f64 v[28:29], v[42:43], -v[58:59]
	;; [unrolled: 7-line block ×3, first 2 shown]
	v_fma_f64 v[38:39], s[2:3], v[28:29], v[74:75]
	v_fmac_f64_e32 v[74:75], s[6:7], v[28:29]
	v_mul_f64 v[42:43], v[38:39], s[6:7]
	v_mul_f64 v[56:57], v[74:75], s[6:7]
	v_mul_f64 v[58:59], v[38:39], 0.5
	v_mul_f64 v[60:61], v[74:75], -0.5
	v_fmac_f64_e32 v[42:43], 0.5, v[34:35]
	v_fmac_f64_e32 v[56:57], -0.5, v[62:63]
	v_fmac_f64_e32 v[58:59], s[2:3], v[34:35]
	v_fmac_f64_e32 v[60:61], s[2:3], v[62:63]
	v_add_f64 v[28:29], v[44:45], v[50:51]
	v_add_f64 v[32:33], v[46:47], v[42:43]
	;; [unrolled: 1-line block ×6, first 2 shown]
	v_add_f64 v[40:41], v[44:45], -v[50:51]
	v_add_f64 v[44:45], v[46:47], -v[42:43]
	;; [unrolled: 1-line block ×6, first 2 shown]
	ds_write_b128 v120, v[0:3]
	ds_write_b128 v120, v[4:7] offset:816
	ds_write_b128 v120, v[8:11] offset:1632
	;; [unrolled: 1-line block ×11, first 2 shown]
	v_lshl_add_u64 v[20:21], v[70:71], 4, s[4:5]
	s_movk_i32 s2, 0x1000
	v_add_co_u32_e32 v22, vcc, s2, v20
	s_movk_i32 s2, 0x2000
	s_nop 0
	v_addc_co_u32_e32 v23, vcc, 0, v21, vcc
	v_add_co_u32_e32 v20, vcc, s2, v20
	s_waitcnt lgkmcnt(0)
	; wave barrier
	s_waitcnt lgkmcnt(0)
	global_load_dwordx4 v[0:3], v[22:23], off offset:528
	global_load_dwordx4 v[4:7], v[22:23], off offset:1344
	;; [unrolled: 1-line block ×5, first 2 shown]
	v_addc_co_u32_e32 v21, vcc, 0, v21, vcc
	global_load_dwordx4 v[20:23], v[20:21], off offset:512
	ds_read_b128 v[24:27], v120
	ds_read_b128 v[28:31], v120 offset:816
	ds_read_b128 v[32:35], v120 offset:4896
	;; [unrolled: 1-line block ×11, first 2 shown]
	s_waitcnt lgkmcnt(0)
	; wave barrier
	s_waitcnt lgkmcnt(0)
	s_add_u32 s2, s4, 0x2530
	s_addc_u32 s3, s5, 0
	v_cmp_ne_u32_e32 vcc, 0, v70
	s_waitcnt vmcnt(5)
	v_mul_f64 v[76:77], v[34:35], v[2:3]
	v_mul_f64 v[2:3], v[32:33], v[2:3]
	v_fmac_f64_e32 v[76:77], v[32:33], v[0:1]
	v_fma_f64 v[2:3], v[34:35], v[0:1], -v[2:3]
	s_waitcnt vmcnt(4)
	v_mul_f64 v[32:33], v[38:39], v[6:7]
	v_mul_f64 v[0:1], v[36:37], v[6:7]
	v_fmac_f64_e32 v[32:33], v[36:37], v[4:5]
	v_fma_f64 v[34:35], v[38:39], v[4:5], -v[0:1]
	;; [unrolled: 5-line block ×6, first 2 shown]
	v_add_f64 v[0:1], v[24:25], -v[76:77]
	v_add_f64 v[2:3], v[26:27], -v[2:3]
	;; [unrolled: 1-line block ×4, first 2 shown]
	v_fma_f64 v[4:5], v[24:25], 2.0, -v[0:1]
	v_fma_f64 v[6:7], v[26:27], 2.0, -v[2:3]
	v_add_f64 v[8:9], v[28:29], -v[32:33]
	v_add_f64 v[10:11], v[30:31], -v[34:35]
	v_fma_f64 v[20:21], v[40:41], 2.0, -v[16:17]
	v_fma_f64 v[22:23], v[42:43], 2.0, -v[18:19]
	v_add_f64 v[24:25], v[44:45], -v[48:49]
	v_add_f64 v[26:27], v[46:47], -v[50:51]
	;; [unrolled: 1-line block ×6, first 2 shown]
	v_fma_f64 v[12:13], v[28:29], 2.0, -v[8:9]
	v_fma_f64 v[14:15], v[30:31], 2.0, -v[10:11]
	;; [unrolled: 1-line block ×8, first 2 shown]
	ds_write_b128 v120, v[4:7]
	ds_write_b128 v120, v[0:3] offset:4896
	ds_write_b128 v120, v[12:15] offset:816
	;; [unrolled: 1-line block ×11, first 2 shown]
	s_waitcnt lgkmcnt(0)
	; wave barrier
	s_waitcnt lgkmcnt(0)
	ds_read_b128 v[4:7], v120
	v_lshlrev_b32_e32 v0, 4, v70
	v_sub_u32_e32 v14, 0, v0
	v_lshl_add_u64 v[8:9], v[70:71], 4, s[2:3]
                                        ; implicit-def: $vgpr0_vgpr1
                                        ; implicit-def: $vgpr10_vgpr11
                                        ; implicit-def: $vgpr12_vgpr13
	s_and_saveexec_b64 s[2:3], vcc
	s_xor_b64 s[2:3], exec, s[2:3]
	s_cbranch_execz .LBB0_15
; %bb.14:
	global_load_dwordx4 v[16:19], v[8:9], off
	ds_read_b128 v[0:3], v14 offset:9792
	s_waitcnt lgkmcnt(0)
	v_add_f64 v[20:21], v[4:5], v[0:1]
	v_add_f64 v[0:1], v[4:5], -v[0:1]
	v_add_f64 v[10:11], v[6:7], v[2:3]
	v_add_f64 v[2:3], v[6:7], -v[2:3]
	v_mul_f64 v[6:7], v[0:1], 0.5
	v_mul_f64 v[4:5], v[10:11], 0.5
	;; [unrolled: 1-line block ×3, first 2 shown]
	s_waitcnt vmcnt(0)
	v_mul_f64 v[2:3], v[6:7], v[18:19]
	v_fma_f64 v[12:13], v[4:5], v[18:19], v[0:1]
	v_fma_f64 v[18:19], v[4:5], v[18:19], -v[0:1]
	v_fma_f64 v[10:11], 0.5, v[20:21], v[2:3]
	v_fma_f64 v[0:1], v[20:21], 0.5, -v[2:3]
	v_fma_f64 v[12:13], -v[16:17], v[6:7], v[12:13]
	v_fmac_f64_e32 v[10:11], v[4:5], v[16:17]
	v_fma_f64 v[0:1], -v[4:5], v[16:17], v[0:1]
	v_fma_f64 v[2:3], -v[16:17], v[6:7], v[18:19]
                                        ; implicit-def: $vgpr4_vgpr5
.LBB0_15:
	s_andn2_saveexec_b64 s[2:3], s[2:3]
	s_cbranch_execz .LBB0_17
; %bb.16:
	v_mov_b32_e32 v15, 0
	ds_read_b64 v[2:3], v15 offset:4904
	v_mov_b64_e32 v[12:13], 0
	s_waitcnt lgkmcnt(1)
	v_add_f64 v[10:11], v[4:5], v[6:7]
	v_add_f64 v[0:1], v[4:5], -v[6:7]
	s_waitcnt lgkmcnt(0)
	v_xor_b32_e32 v3, 0x80000000, v3
	ds_write_b64 v15, v[2:3] offset:4904
	v_mov_b64_e32 v[2:3], v[12:13]
.LBB0_17:
	s_or_b64 exec, exec, s[2:3]
	s_waitcnt lgkmcnt(0)
	global_load_dwordx4 v[4:7], v[8:9], off offset:816
	global_load_dwordx4 v[16:19], v[8:9], off offset:1632
	;; [unrolled: 1-line block ×3, first 2 shown]
	ds_write2_b64 v120, v[10:11], v[12:13] offset1:1
	ds_write_b128 v14, v[0:3] offset:9792
	ds_read_b128 v[0:3], v120 offset:816
	ds_read_b128 v[10:13], v14 offset:8976
	global_load_dwordx4 v[24:27], v[8:9], off offset:3264
	v_add_u32_e32 v15, 0x800, v120
	s_waitcnt lgkmcnt(0)
	v_add_f64 v[28:29], v[0:1], v[10:11]
	v_add_f64 v[0:1], v[0:1], -v[10:11]
	v_add_f64 v[30:31], v[2:3], v[12:13]
	v_add_f64 v[2:3], v[2:3], -v[12:13]
	v_mul_f64 v[0:1], v[0:1], 0.5
	v_mul_f64 v[10:11], v[30:31], 0.5
	;; [unrolled: 1-line block ×3, first 2 shown]
	s_waitcnt vmcnt(3)
	v_mul_f64 v[12:13], v[0:1], v[6:7]
	v_fma_f64 v[30:31], v[10:11], v[6:7], v[2:3]
	v_fma_f64 v[2:3], v[10:11], v[6:7], -v[2:3]
	v_fma_f64 v[6:7], 0.5, v[28:29], v[12:13]
	v_fma_f64 v[30:31], -v[4:5], v[0:1], v[30:31]
	v_fma_f64 v[12:13], v[28:29], 0.5, -v[12:13]
	v_fmac_f64_e32 v[6:7], v[10:11], v[4:5]
	v_fma_f64 v[2:3], -v[4:5], v[0:1], v[2:3]
	v_fma_f64 v[0:1], -v[10:11], v[4:5], v[12:13]
	ds_write2_b64 v120, v[6:7], v[30:31] offset0:102 offset1:103
	ds_write_b128 v14, v[0:3] offset:8976
	ds_read_b128 v[0:3], v120 offset:1632
	ds_read_b128 v[4:7], v14 offset:8160
	global_load_dwordx4 v[8:11], v[8:9], off offset:4080
	s_waitcnt lgkmcnt(0)
	v_add_f64 v[12:13], v[0:1], v[4:5]
	v_add_f64 v[0:1], v[0:1], -v[4:5]
	v_add_f64 v[28:29], v[2:3], v[6:7]
	v_add_f64 v[2:3], v[2:3], -v[6:7]
	v_mul_f64 v[0:1], v[0:1], 0.5
	v_mul_f64 v[4:5], v[28:29], 0.5
	;; [unrolled: 1-line block ×3, first 2 shown]
	s_waitcnt vmcnt(3)
	v_mul_f64 v[6:7], v[0:1], v[18:19]
	v_fma_f64 v[28:29], v[4:5], v[18:19], v[2:3]
	v_fma_f64 v[2:3], v[4:5], v[18:19], -v[2:3]
	v_fma_f64 v[18:19], 0.5, v[12:13], v[6:7]
	v_fma_f64 v[28:29], -v[16:17], v[0:1], v[28:29]
	v_fma_f64 v[6:7], v[12:13], 0.5, -v[6:7]
	v_fmac_f64_e32 v[18:19], v[4:5], v[16:17]
	v_fma_f64 v[2:3], -v[16:17], v[0:1], v[2:3]
	v_fma_f64 v[0:1], -v[4:5], v[16:17], v[6:7]
	ds_write2_b64 v120, v[18:19], v[28:29] offset0:204 offset1:205
	ds_write_b128 v14, v[0:3] offset:8160
	ds_read_b128 v[0:3], v120 offset:2448
	ds_read_b128 v[4:7], v14 offset:7344
	s_waitcnt lgkmcnt(0)
	v_add_f64 v[12:13], v[0:1], v[4:5]
	v_add_f64 v[0:1], v[0:1], -v[4:5]
	v_add_f64 v[16:17], v[2:3], v[6:7]
	v_add_f64 v[2:3], v[2:3], -v[6:7]
	v_mul_f64 v[0:1], v[0:1], 0.5
	v_mul_f64 v[4:5], v[16:17], 0.5
	;; [unrolled: 1-line block ×3, first 2 shown]
	s_waitcnt vmcnt(2)
	v_mul_f64 v[6:7], v[0:1], v[22:23]
	v_fma_f64 v[16:17], v[4:5], v[22:23], v[2:3]
	v_fma_f64 v[18:19], 0.5, v[12:13], v[6:7]
	v_fma_f64 v[2:3], v[4:5], v[22:23], -v[2:3]
	v_fma_f64 v[16:17], -v[20:21], v[0:1], v[16:17]
	v_fma_f64 v[6:7], v[12:13], 0.5, -v[6:7]
	v_fmac_f64_e32 v[18:19], v[4:5], v[20:21]
	v_fma_f64 v[2:3], -v[20:21], v[0:1], v[2:3]
	v_fma_f64 v[0:1], -v[4:5], v[20:21], v[6:7]
	ds_write2_b64 v15, v[18:19], v[16:17] offset0:50 offset1:51
	ds_write_b128 v14, v[0:3] offset:7344
	ds_read_b128 v[0:3], v120 offset:3264
	ds_read_b128 v[4:7], v14 offset:6528
	s_waitcnt lgkmcnt(0)
	v_add_f64 v[12:13], v[0:1], v[4:5]
	v_add_f64 v[0:1], v[0:1], -v[4:5]
	v_add_f64 v[16:17], v[2:3], v[6:7]
	v_add_f64 v[2:3], v[2:3], -v[6:7]
	v_mul_f64 v[0:1], v[0:1], 0.5
	v_mul_f64 v[4:5], v[16:17], 0.5
	;; [unrolled: 1-line block ×3, first 2 shown]
	s_waitcnt vmcnt(1)
	v_mul_f64 v[6:7], v[0:1], v[26:27]
	v_fma_f64 v[16:17], v[4:5], v[26:27], v[2:3]
	v_fma_f64 v[18:19], 0.5, v[12:13], v[6:7]
	v_fma_f64 v[2:3], v[4:5], v[26:27], -v[2:3]
	v_fma_f64 v[16:17], -v[24:25], v[0:1], v[16:17]
	v_fma_f64 v[6:7], v[12:13], 0.5, -v[6:7]
	v_fmac_f64_e32 v[18:19], v[4:5], v[24:25]
	v_fma_f64 v[2:3], -v[24:25], v[0:1], v[2:3]
	v_fma_f64 v[0:1], -v[4:5], v[24:25], v[6:7]
	ds_write2_b64 v15, v[18:19], v[16:17] offset0:152 offset1:153
	ds_write_b128 v14, v[0:3] offset:6528
	ds_read_b128 v[0:3], v120 offset:4080
	ds_read_b128 v[4:7], v14 offset:5712
	s_waitcnt lgkmcnt(0)
	v_add_f64 v[12:13], v[0:1], v[4:5]
	v_add_f64 v[0:1], v[0:1], -v[4:5]
	v_add_f64 v[16:17], v[2:3], v[6:7]
	v_add_f64 v[2:3], v[2:3], -v[6:7]
	v_mul_f64 v[0:1], v[0:1], 0.5
	v_mul_f64 v[4:5], v[16:17], 0.5
	;; [unrolled: 1-line block ×3, first 2 shown]
	s_waitcnt vmcnt(0)
	v_mul_f64 v[6:7], v[0:1], v[10:11]
	v_fma_f64 v[16:17], v[4:5], v[10:11], v[2:3]
	v_fma_f64 v[2:3], v[4:5], v[10:11], -v[2:3]
	v_fma_f64 v[10:11], 0.5, v[12:13], v[6:7]
	v_fma_f64 v[16:17], -v[8:9], v[0:1], v[16:17]
	v_fma_f64 v[6:7], v[12:13], 0.5, -v[6:7]
	v_fmac_f64_e32 v[10:11], v[4:5], v[8:9]
	v_fma_f64 v[2:3], -v[8:9], v[0:1], v[2:3]
	v_fma_f64 v[0:1], -v[4:5], v[8:9], v[6:7]
	ds_write2_b64 v15, v[10:11], v[16:17] offset0:254 offset1:255
	ds_write_b128 v14, v[0:3] offset:5712
	s_waitcnt lgkmcnt(0)
	; wave barrier
	s_waitcnt lgkmcnt(0)
	s_and_saveexec_b64 s[2:3], s[0:1]
	s_cbranch_execz .LBB0_20
; %bb.18:
	ds_read_b128 v[0:3], v120
	v_lshl_add_u64 v[20:21], v[70:71], 4, v[68:69]
	ds_read_b128 v[4:7], v120 offset:816
	ds_read_b128 v[8:11], v120 offset:1632
	;; [unrolled: 1-line block ×3, first 2 shown]
	s_waitcnt lgkmcnt(3)
	global_store_dwordx4 v[20:21], v[0:3], off
	ds_read_b128 v[0:3], v120 offset:3264
	ds_read_b128 v[16:19], v120 offset:4080
	s_waitcnt lgkmcnt(4)
	global_store_dwordx4 v[20:21], v[4:7], off offset:816
	s_waitcnt lgkmcnt(3)
	global_store_dwordx4 v[20:21], v[8:11], off offset:1632
	;; [unrolled: 2-line block ×5, first 2 shown]
	ds_read_b128 v[0:3], v120 offset:4896
	ds_read_b128 v[4:7], v120 offset:5712
	;; [unrolled: 1-line block ×4, first 2 shown]
	v_add_co_u32_e32 v16, vcc, 0x1000, v20
	s_nop 1
	v_addc_co_u32_e32 v17, vcc, 0, v21, vcc
	s_waitcnt lgkmcnt(3)
	global_store_dwordx4 v[16:17], v[0:3], off offset:800
	ds_read_b128 v[0:3], v120 offset:8160
	s_waitcnt lgkmcnt(3)
	global_store_dwordx4 v[16:17], v[4:7], off offset:1616
	s_waitcnt lgkmcnt(2)
	global_store_dwordx4 v[16:17], v[8:11], off offset:2432
	;; [unrolled: 2-line block ×3, first 2 shown]
	ds_read_b128 v[4:7], v120 offset:8976
	s_waitcnt lgkmcnt(1)
	global_store_dwordx4 v[16:17], v[0:3], off offset:4064
	s_nop 1
	v_add_co_u32_e32 v0, vcc, 0x2000, v20
	s_nop 1
	v_addc_co_u32_e32 v1, vcc, 0, v21, vcc
	v_cmp_eq_u32_e32 vcc, 50, v70
	s_waitcnt lgkmcnt(0)
	global_store_dwordx4 v[0:1], v[4:7], off offset:784
	s_and_b64 exec, exec, vcc
	s_cbranch_execz .LBB0_20
; %bb.19:
	v_mov_b32_e32 v0, 0
	ds_read_b128 v[0:3], v0 offset:9792
	v_add_co_u32_e32 v4, vcc, 0x2000, v68
	s_nop 1
	v_addc_co_u32_e32 v5, vcc, 0, v69, vcc
	s_waitcnt lgkmcnt(0)
	global_store_dwordx4 v[4:5], v[0:3], off offset:1600
.LBB0_20:
	s_endpgm
	.section	.rodata,"a",@progbits
	.p2align	6, 0x0
	.amdhsa_kernel fft_rtc_back_len612_factors_17_3_6_2_wgs_51_tpt_51_halfLds_dp_ip_CI_unitstride_sbrr_R2C_dirReg
		.amdhsa_group_segment_fixed_size 0
		.amdhsa_private_segment_fixed_size 0
		.amdhsa_kernarg_size 88
		.amdhsa_user_sgpr_count 2
		.amdhsa_user_sgpr_dispatch_ptr 0
		.amdhsa_user_sgpr_queue_ptr 0
		.amdhsa_user_sgpr_kernarg_segment_ptr 1
		.amdhsa_user_sgpr_dispatch_id 0
		.amdhsa_user_sgpr_kernarg_preload_length 0
		.amdhsa_user_sgpr_kernarg_preload_offset 0
		.amdhsa_user_sgpr_private_segment_size 0
		.amdhsa_uses_dynamic_stack 0
		.amdhsa_enable_private_segment 0
		.amdhsa_system_sgpr_workgroup_id_x 1
		.amdhsa_system_sgpr_workgroup_id_y 0
		.amdhsa_system_sgpr_workgroup_id_z 0
		.amdhsa_system_sgpr_workgroup_info 0
		.amdhsa_system_vgpr_workitem_id 0
		.amdhsa_next_free_vgpr 164
		.amdhsa_next_free_sgpr 54
		.amdhsa_accum_offset 164
		.amdhsa_reserve_vcc 1
		.amdhsa_float_round_mode_32 0
		.amdhsa_float_round_mode_16_64 0
		.amdhsa_float_denorm_mode_32 3
		.amdhsa_float_denorm_mode_16_64 3
		.amdhsa_dx10_clamp 1
		.amdhsa_ieee_mode 1
		.amdhsa_fp16_overflow 0
		.amdhsa_tg_split 0
		.amdhsa_exception_fp_ieee_invalid_op 0
		.amdhsa_exception_fp_denorm_src 0
		.amdhsa_exception_fp_ieee_div_zero 0
		.amdhsa_exception_fp_ieee_overflow 0
		.amdhsa_exception_fp_ieee_underflow 0
		.amdhsa_exception_fp_ieee_inexact 0
		.amdhsa_exception_int_div_zero 0
	.end_amdhsa_kernel
	.text
.Lfunc_end0:
	.size	fft_rtc_back_len612_factors_17_3_6_2_wgs_51_tpt_51_halfLds_dp_ip_CI_unitstride_sbrr_R2C_dirReg, .Lfunc_end0-fft_rtc_back_len612_factors_17_3_6_2_wgs_51_tpt_51_halfLds_dp_ip_CI_unitstride_sbrr_R2C_dirReg
                                        ; -- End function
	.section	.AMDGPU.csdata,"",@progbits
; Kernel info:
; codeLenInByte = 12128
; NumSgprs: 60
; NumVgprs: 164
; NumAgprs: 0
; TotalNumVgprs: 164
; ScratchSize: 0
; MemoryBound: 0
; FloatMode: 240
; IeeeMode: 1
; LDSByteSize: 0 bytes/workgroup (compile time only)
; SGPRBlocks: 7
; VGPRBlocks: 20
; NumSGPRsForWavesPerEU: 60
; NumVGPRsForWavesPerEU: 164
; AccumOffset: 164
; Occupancy: 3
; WaveLimiterHint : 1
; COMPUTE_PGM_RSRC2:SCRATCH_EN: 0
; COMPUTE_PGM_RSRC2:USER_SGPR: 2
; COMPUTE_PGM_RSRC2:TRAP_HANDLER: 0
; COMPUTE_PGM_RSRC2:TGID_X_EN: 1
; COMPUTE_PGM_RSRC2:TGID_Y_EN: 0
; COMPUTE_PGM_RSRC2:TGID_Z_EN: 0
; COMPUTE_PGM_RSRC2:TIDIG_COMP_CNT: 0
; COMPUTE_PGM_RSRC3_GFX90A:ACCUM_OFFSET: 40
; COMPUTE_PGM_RSRC3_GFX90A:TG_SPLIT: 0
	.text
	.p2alignl 6, 3212836864
	.fill 256, 4, 3212836864
	.type	__hip_cuid_2f0c984ca516357c,@object ; @__hip_cuid_2f0c984ca516357c
	.section	.bss,"aw",@nobits
	.globl	__hip_cuid_2f0c984ca516357c
__hip_cuid_2f0c984ca516357c:
	.byte	0                               ; 0x0
	.size	__hip_cuid_2f0c984ca516357c, 1

	.ident	"AMD clang version 19.0.0git (https://github.com/RadeonOpenCompute/llvm-project roc-6.4.0 25133 c7fe45cf4b819c5991fe208aaa96edf142730f1d)"
	.section	".note.GNU-stack","",@progbits
	.addrsig
	.addrsig_sym __hip_cuid_2f0c984ca516357c
	.amdgpu_metadata
---
amdhsa.kernels:
  - .agpr_count:     0
    .args:
      - .actual_access:  read_only
        .address_space:  global
        .offset:         0
        .size:           8
        .value_kind:     global_buffer
      - .offset:         8
        .size:           8
        .value_kind:     by_value
      - .actual_access:  read_only
        .address_space:  global
        .offset:         16
        .size:           8
        .value_kind:     global_buffer
      - .actual_access:  read_only
        .address_space:  global
        .offset:         24
        .size:           8
        .value_kind:     global_buffer
      - .offset:         32
        .size:           8
        .value_kind:     by_value
      - .actual_access:  read_only
        .address_space:  global
        .offset:         40
        .size:           8
        .value_kind:     global_buffer
      - .actual_access:  read_only
        .address_space:  global
        .offset:         48
        .size:           8
        .value_kind:     global_buffer
      - .offset:         56
        .size:           4
        .value_kind:     by_value
      - .actual_access:  read_only
        .address_space:  global
        .offset:         64
        .size:           8
        .value_kind:     global_buffer
      - .actual_access:  read_only
        .address_space:  global
        .offset:         72
        .size:           8
        .value_kind:     global_buffer
      - .address_space:  global
        .offset:         80
        .size:           8
        .value_kind:     global_buffer
    .group_segment_fixed_size: 0
    .kernarg_segment_align: 8
    .kernarg_segment_size: 88
    .language:       OpenCL C
    .language_version:
      - 2
      - 0
    .max_flat_workgroup_size: 51
    .name:           fft_rtc_back_len612_factors_17_3_6_2_wgs_51_tpt_51_halfLds_dp_ip_CI_unitstride_sbrr_R2C_dirReg
    .private_segment_fixed_size: 0
    .sgpr_count:     60
    .sgpr_spill_count: 0
    .symbol:         fft_rtc_back_len612_factors_17_3_6_2_wgs_51_tpt_51_halfLds_dp_ip_CI_unitstride_sbrr_R2C_dirReg.kd
    .uniform_work_group_size: 1
    .uses_dynamic_stack: false
    .vgpr_count:     164
    .vgpr_spill_count: 0
    .wavefront_size: 64
amdhsa.target:   amdgcn-amd-amdhsa--gfx950
amdhsa.version:
  - 1
  - 2
...

	.end_amdgpu_metadata
